;; amdgpu-corpus repo=ROCm/rocFFT kind=compiled arch=gfx1030 opt=O3
	.text
	.amdgcn_target "amdgcn-amd-amdhsa--gfx1030"
	.amdhsa_code_object_version 6
	.protected	fft_rtc_fwd_len3600_factors_10_10_6_6_wgs_120_tpt_120_halfLds_half_op_CI_CI_unitstride_sbrr_dirReg ; -- Begin function fft_rtc_fwd_len3600_factors_10_10_6_6_wgs_120_tpt_120_halfLds_half_op_CI_CI_unitstride_sbrr_dirReg
	.globl	fft_rtc_fwd_len3600_factors_10_10_6_6_wgs_120_tpt_120_halfLds_half_op_CI_CI_unitstride_sbrr_dirReg
	.p2align	8
	.type	fft_rtc_fwd_len3600_factors_10_10_6_6_wgs_120_tpt_120_halfLds_half_op_CI_CI_unitstride_sbrr_dirReg,@function
fft_rtc_fwd_len3600_factors_10_10_6_6_wgs_120_tpt_120_halfLds_half_op_CI_CI_unitstride_sbrr_dirReg: ; @fft_rtc_fwd_len3600_factors_10_10_6_6_wgs_120_tpt_120_halfLds_half_op_CI_CI_unitstride_sbrr_dirReg
; %bb.0:
	s_clause 0x2
	s_load_dwordx4 s[12:15], s[4:5], 0x0
	s_load_dwordx4 s[8:11], s[4:5], 0x58
	;; [unrolled: 1-line block ×3, first 2 shown]
	v_mul_u32_u24_e32 v1, 0x223, v0
	v_mov_b32_e32 v3, 0
	v_add_nc_u32_sdwa v5, s6, v1 dst_sel:DWORD dst_unused:UNUSED_PAD src0_sel:DWORD src1_sel:WORD_1
	v_mov_b32_e32 v1, 0
	v_mov_b32_e32 v6, v3
	v_mov_b32_e32 v2, 0
	s_waitcnt lgkmcnt(0)
	v_cmp_lt_u64_e64 s0, s[14:15], 2
	s_and_b32 vcc_lo, exec_lo, s0
	s_cbranch_vccnz .LBB0_8
; %bb.1:
	s_load_dwordx2 s[0:1], s[4:5], 0x10
	v_mov_b32_e32 v1, 0
	v_mov_b32_e32 v2, 0
	s_add_u32 s2, s18, 8
	s_addc_u32 s3, s19, 0
	s_add_u32 s6, s16, 8
	s_addc_u32 s7, s17, 0
	v_mov_b32_e32 v25, v2
	v_mov_b32_e32 v24, v1
	s_mov_b64 s[22:23], 1
	s_waitcnt lgkmcnt(0)
	s_add_u32 s20, s0, 8
	s_addc_u32 s21, s1, 0
.LBB0_2:                                ; =>This Inner Loop Header: Depth=1
	s_load_dwordx2 s[24:25], s[20:21], 0x0
                                        ; implicit-def: $vgpr26_vgpr27
	s_mov_b32 s0, exec_lo
	s_waitcnt lgkmcnt(0)
	v_or_b32_e32 v4, s25, v6
	v_cmpx_ne_u64_e32 0, v[3:4]
	s_xor_b32 s1, exec_lo, s0
	s_cbranch_execz .LBB0_4
; %bb.3:                                ;   in Loop: Header=BB0_2 Depth=1
	v_cvt_f32_u32_e32 v4, s24
	v_cvt_f32_u32_e32 v7, s25
	s_sub_u32 s0, 0, s24
	s_subb_u32 s26, 0, s25
	v_fmac_f32_e32 v4, 0x4f800000, v7
	v_rcp_f32_e32 v4, v4
	v_mul_f32_e32 v4, 0x5f7ffffc, v4
	v_mul_f32_e32 v7, 0x2f800000, v4
	v_trunc_f32_e32 v7, v7
	v_fmac_f32_e32 v4, 0xcf800000, v7
	v_cvt_u32_f32_e32 v7, v7
	v_cvt_u32_f32_e32 v4, v4
	v_mul_lo_u32 v8, s0, v7
	v_mul_hi_u32 v9, s0, v4
	v_mul_lo_u32 v10, s26, v4
	v_add_nc_u32_e32 v8, v9, v8
	v_mul_lo_u32 v9, s0, v4
	v_add_nc_u32_e32 v8, v8, v10
	v_mul_hi_u32 v10, v4, v9
	v_mul_lo_u32 v11, v4, v8
	v_mul_hi_u32 v12, v4, v8
	v_mul_hi_u32 v13, v7, v9
	v_mul_lo_u32 v9, v7, v9
	v_mul_hi_u32 v14, v7, v8
	v_mul_lo_u32 v8, v7, v8
	v_add_co_u32 v10, vcc_lo, v10, v11
	v_add_co_ci_u32_e32 v11, vcc_lo, 0, v12, vcc_lo
	v_add_co_u32 v9, vcc_lo, v10, v9
	v_add_co_ci_u32_e32 v9, vcc_lo, v11, v13, vcc_lo
	v_add_co_ci_u32_e32 v10, vcc_lo, 0, v14, vcc_lo
	v_add_co_u32 v8, vcc_lo, v9, v8
	v_add_co_ci_u32_e32 v9, vcc_lo, 0, v10, vcc_lo
	v_add_co_u32 v4, vcc_lo, v4, v8
	v_add_co_ci_u32_e32 v7, vcc_lo, v7, v9, vcc_lo
	v_mul_hi_u32 v8, s0, v4
	v_mul_lo_u32 v10, s26, v4
	v_mul_lo_u32 v9, s0, v7
	v_add_nc_u32_e32 v8, v8, v9
	v_mul_lo_u32 v9, s0, v4
	v_add_nc_u32_e32 v8, v8, v10
	v_mul_hi_u32 v10, v4, v9
	v_mul_lo_u32 v11, v4, v8
	v_mul_hi_u32 v12, v4, v8
	v_mul_hi_u32 v13, v7, v9
	v_mul_lo_u32 v9, v7, v9
	v_mul_hi_u32 v14, v7, v8
	v_mul_lo_u32 v8, v7, v8
	v_add_co_u32 v10, vcc_lo, v10, v11
	v_add_co_ci_u32_e32 v11, vcc_lo, 0, v12, vcc_lo
	v_add_co_u32 v9, vcc_lo, v10, v9
	v_add_co_ci_u32_e32 v9, vcc_lo, v11, v13, vcc_lo
	v_add_co_ci_u32_e32 v10, vcc_lo, 0, v14, vcc_lo
	v_add_co_u32 v8, vcc_lo, v9, v8
	v_add_co_ci_u32_e32 v9, vcc_lo, 0, v10, vcc_lo
	v_add_co_u32 v4, vcc_lo, v4, v8
	v_add_co_ci_u32_e32 v11, vcc_lo, v7, v9, vcc_lo
	v_mul_hi_u32 v13, v5, v4
	v_mad_u64_u32 v[9:10], null, v6, v4, 0
	v_mad_u64_u32 v[7:8], null, v5, v11, 0
	;; [unrolled: 1-line block ×3, first 2 shown]
	v_add_co_u32 v4, vcc_lo, v13, v7
	v_add_co_ci_u32_e32 v7, vcc_lo, 0, v8, vcc_lo
	v_add_co_u32 v4, vcc_lo, v4, v9
	v_add_co_ci_u32_e32 v4, vcc_lo, v7, v10, vcc_lo
	v_add_co_ci_u32_e32 v7, vcc_lo, 0, v12, vcc_lo
	v_add_co_u32 v4, vcc_lo, v4, v11
	v_add_co_ci_u32_e32 v9, vcc_lo, 0, v7, vcc_lo
	v_mul_lo_u32 v10, s25, v4
	v_mad_u64_u32 v[7:8], null, s24, v4, 0
	v_mul_lo_u32 v11, s24, v9
	v_sub_co_u32 v7, vcc_lo, v5, v7
	v_add3_u32 v8, v8, v11, v10
	v_sub_nc_u32_e32 v10, v6, v8
	v_subrev_co_ci_u32_e64 v10, s0, s25, v10, vcc_lo
	v_add_co_u32 v11, s0, v4, 2
	v_add_co_ci_u32_e64 v12, s0, 0, v9, s0
	v_sub_co_u32 v13, s0, v7, s24
	v_sub_co_ci_u32_e32 v8, vcc_lo, v6, v8, vcc_lo
	v_subrev_co_ci_u32_e64 v10, s0, 0, v10, s0
	v_cmp_le_u32_e32 vcc_lo, s24, v13
	v_cmp_eq_u32_e64 s0, s25, v8
	v_cndmask_b32_e64 v13, 0, -1, vcc_lo
	v_cmp_le_u32_e32 vcc_lo, s25, v10
	v_cndmask_b32_e64 v14, 0, -1, vcc_lo
	v_cmp_le_u32_e32 vcc_lo, s24, v7
	;; [unrolled: 2-line block ×3, first 2 shown]
	v_cndmask_b32_e64 v15, 0, -1, vcc_lo
	v_cmp_eq_u32_e32 vcc_lo, s25, v10
	v_cndmask_b32_e64 v7, v15, v7, s0
	v_cndmask_b32_e32 v10, v14, v13, vcc_lo
	v_add_co_u32 v13, vcc_lo, v4, 1
	v_add_co_ci_u32_e32 v14, vcc_lo, 0, v9, vcc_lo
	v_cmp_ne_u32_e32 vcc_lo, 0, v10
	v_cndmask_b32_e32 v8, v14, v12, vcc_lo
	v_cndmask_b32_e32 v10, v13, v11, vcc_lo
	v_cmp_ne_u32_e32 vcc_lo, 0, v7
	v_cndmask_b32_e32 v27, v9, v8, vcc_lo
	v_cndmask_b32_e32 v26, v4, v10, vcc_lo
.LBB0_4:                                ;   in Loop: Header=BB0_2 Depth=1
	s_andn2_saveexec_b32 s0, s1
	s_cbranch_execz .LBB0_6
; %bb.5:                                ;   in Loop: Header=BB0_2 Depth=1
	v_cvt_f32_u32_e32 v4, s24
	s_sub_i32 s1, 0, s24
	v_mov_b32_e32 v27, v3
	v_rcp_iflag_f32_e32 v4, v4
	v_mul_f32_e32 v4, 0x4f7ffffe, v4
	v_cvt_u32_f32_e32 v4, v4
	v_mul_lo_u32 v7, s1, v4
	v_mul_hi_u32 v7, v4, v7
	v_add_nc_u32_e32 v4, v4, v7
	v_mul_hi_u32 v4, v5, v4
	v_mul_lo_u32 v7, v4, s24
	v_add_nc_u32_e32 v8, 1, v4
	v_sub_nc_u32_e32 v7, v5, v7
	v_subrev_nc_u32_e32 v9, s24, v7
	v_cmp_le_u32_e32 vcc_lo, s24, v7
	v_cndmask_b32_e32 v7, v7, v9, vcc_lo
	v_cndmask_b32_e32 v4, v4, v8, vcc_lo
	v_cmp_le_u32_e32 vcc_lo, s24, v7
	v_add_nc_u32_e32 v8, 1, v4
	v_cndmask_b32_e32 v26, v4, v8, vcc_lo
.LBB0_6:                                ;   in Loop: Header=BB0_2 Depth=1
	s_or_b32 exec_lo, exec_lo, s0
	v_mul_lo_u32 v4, v27, s24
	v_mul_lo_u32 v9, v26, s25
	s_load_dwordx2 s[0:1], s[6:7], 0x0
	v_mad_u64_u32 v[7:8], null, v26, s24, 0
	s_load_dwordx2 s[24:25], s[2:3], 0x0
	s_add_u32 s22, s22, 1
	s_addc_u32 s23, s23, 0
	s_add_u32 s2, s2, 8
	s_addc_u32 s3, s3, 0
	s_add_u32 s6, s6, 8
	v_add3_u32 v4, v8, v9, v4
	v_sub_co_u32 v5, vcc_lo, v5, v7
	s_addc_u32 s7, s7, 0
	s_add_u32 s20, s20, 8
	v_sub_co_ci_u32_e32 v4, vcc_lo, v6, v4, vcc_lo
	s_addc_u32 s21, s21, 0
	s_waitcnt lgkmcnt(0)
	v_mul_lo_u32 v6, s0, v4
	v_mul_lo_u32 v7, s1, v5
	v_mad_u64_u32 v[1:2], null, s0, v5, v[1:2]
	v_mul_lo_u32 v4, s24, v4
	v_mul_lo_u32 v8, s25, v5
	v_mad_u64_u32 v[24:25], null, s24, v5, v[24:25]
	v_cmp_ge_u64_e64 s0, s[22:23], s[14:15]
	v_add3_u32 v2, v7, v2, v6
	v_add3_u32 v25, v8, v25, v4
	s_and_b32 vcc_lo, exec_lo, s0
	s_cbranch_vccnz .LBB0_9
; %bb.7:                                ;   in Loop: Header=BB0_2 Depth=1
	v_mov_b32_e32 v5, v26
	v_mov_b32_e32 v6, v27
	s_branch .LBB0_2
.LBB0_8:
	v_mov_b32_e32 v25, v2
	v_mov_b32_e32 v27, v6
	;; [unrolled: 1-line block ×4, first 2 shown]
.LBB0_9:
	s_load_dwordx2 s[0:1], s[4:5], 0x28
	v_mul_hi_u32 v53, 0x2222223, v0
	s_lshl_b64 s[4:5], s[14:15], 3
                                        ; implicit-def: $vgpr28
	s_add_u32 s2, s18, s4
	s_addc_u32 s3, s19, s5
	s_waitcnt lgkmcnt(0)
	v_cmp_gt_u64_e32 vcc_lo, s[0:1], v[26:27]
	v_cmp_le_u64_e64 s0, s[0:1], v[26:27]
	s_and_saveexec_b32 s1, s0
	s_xor_b32 s0, exec_lo, s1
; %bb.10:
	v_mul_u32_u24_e32 v1, 0x78, v53
                                        ; implicit-def: $vgpr53
	v_sub_nc_u32_e32 v28, v0, v1
                                        ; implicit-def: $vgpr0
                                        ; implicit-def: $vgpr1_vgpr2
; %bb.11:
	s_or_saveexec_b32 s1, s0
                                        ; implicit-def: $vgpr7
                                        ; implicit-def: $vgpr8
                                        ; implicit-def: $vgpr9
                                        ; implicit-def: $vgpr6
                                        ; implicit-def: $vgpr12
                                        ; implicit-def: $vgpr4
                                        ; implicit-def: $vgpr13
                                        ; implicit-def: $vgpr10
                                        ; implicit-def: $vgpr3
                                        ; implicit-def: $vgpr34
                                        ; implicit-def: $vgpr21
                                        ; implicit-def: $vgpr19
                                        ; implicit-def: $vgpr22
                                        ; implicit-def: $vgpr20
                                        ; implicit-def: $vgpr30
                                        ; implicit-def: $vgpr18
                                        ; implicit-def: $vgpr31
                                        ; implicit-def: $vgpr14
                                        ; implicit-def: $vgpr5
                                        ; implicit-def: $vgpr29
                                        ; implicit-def: $vgpr43
                                        ; implicit-def: $vgpr37
                                        ; implicit-def: $vgpr44
                                        ; implicit-def: $vgpr35
                                        ; implicit-def: $vgpr45
                                        ; implicit-def: $vgpr36
                                        ; implicit-def: $vgpr46
                                        ; implicit-def: $vgpr39
                                        ; implicit-def: $vgpr41
                                        ; implicit-def: $vgpr33
                                        ; implicit-def: $vgpr42
                                        ; implicit-def: $vgpr40
                                        ; implicit-def: $vgpr38
                                        ; implicit-def: $vgpr52
                                        ; implicit-def: $vgpr51
                                        ; implicit-def: $vgpr23
                                        ; implicit-def: $vgpr17
                                        ; implicit-def: $vgpr32
                                        ; implicit-def: $vgpr49
                                        ; implicit-def: $vgpr50
                                        ; implicit-def: $vgpr15
                                        ; implicit-def: $vgpr11
                                        ; implicit-def: $vgpr16
                                        ; implicit-def: $vgpr48
                                        ; implicit-def: $vgpr47
	s_xor_b32 exec_lo, exec_lo, s1
	s_cbranch_execz .LBB0_13
; %bb.12:
	s_add_u32 s4, s16, s4
	s_addc_u32 s5, s17, s5
	v_lshlrev_b64 v[1:2], 2, v[1:2]
	s_load_dwordx2 s[4:5], s[4:5], 0x0
	s_waitcnt lgkmcnt(0)
	v_mul_lo_u32 v5, s5, v26
	v_mul_lo_u32 v6, s4, v27
	v_mad_u64_u32 v[3:4], null, s4, v26, 0
	v_add3_u32 v4, v4, v6, v5
	v_mul_u32_u24_e32 v5, 0x78, v53
	v_lshlrev_b64 v[3:4], 2, v[3:4]
	v_sub_nc_u32_e32 v28, v0, v5
	v_add_co_u32 v0, s0, s8, v3
	v_add_co_ci_u32_e64 v3, s0, s9, v4, s0
	v_lshlrev_b32_e32 v4, 2, v28
	v_add_co_u32 v5, s0, v0, v1
	v_add_co_ci_u32_e64 v3, s0, v3, v2, s0
	v_or_b32_e32 v2, 0x1e00, v4
	v_add_co_u32 v0, s0, v5, v4
	v_add_co_ci_u32_e64 v1, s0, 0, v3, s0
	v_add_co_u32 v2, s0, v5, v2
	v_add_co_ci_u32_e64 v3, s0, 0, v3, s0
	v_add_co_u32 v7, s0, 0x800, v0
	v_add_co_ci_u32_e64 v8, s0, 0, v1, s0
	v_add_co_u32 v9, s0, 0x1000, v0
	v_add_co_ci_u32_e64 v10, s0, 0, v1, s0
	v_add_co_u32 v12, s0, 0x2000, v0
	v_add_co_ci_u32_e64 v13, s0, 0, v1, s0
	v_add_co_u32 v21, s0, 0x2800, v0
	v_add_co_ci_u32_e64 v22, s0, 0, v1, s0
	v_add_co_u32 v15, s0, 0x1800, v0
	v_add_co_ci_u32_e64 v16, s0, 0, v1, s0
	v_add_co_u32 v30, s0, 0x3000, v0
	v_add_co_ci_u32_e64 v31, s0, 0, v1, s0
	s_clause 0x1d
	global_load_dword v33, v[0:1], off
	global_load_dword v29, v[0:1], off offset:480
	global_load_dword v36, v[9:10], off offset:1664
	;; [unrolled: 1-line block ×24, first 2 shown]
	global_load_dword v32, v[2:3], off
	global_load_dword v42, v[12:13], off offset:1888
	global_load_dword v23, v[21:22], off offset:320
	;; [unrolled: 1-line block ×4, first 2 shown]
	s_waitcnt vmcnt(29)
	v_lshrrev_b32_e32 v41, 16, v33
	s_waitcnt vmcnt(28)
	v_lshrrev_b32_e32 v5, 16, v29
	;; [unrolled: 2-line block ×15, first 2 shown]
.LBB0_13:
	s_or_b32 exec_lo, exec_lo, s1
	v_add_f16_e32 v0, v35, v36
	v_add_f16_e32 v1, v37, v39
	v_sub_f16_e32 v2, v39, v36
	v_sub_f16_e32 v56, v37, v35
	v_pk_add_f16 v59, v40, v52
	s_waitcnt vmcnt(3)
	v_pk_add_f16 v60, v38, v42 neg_lo:[0,1] neg_hi:[0,1]
	v_add_f16_e32 v55, v39, v33
	v_sub_f16_e32 v54, v45, v44
	v_fma_f16 v0, -0.5, v0, v33
	v_fmac_f16_e32 v33, -0.5, v1
	v_add_f16_e32 v61, v56, v2
	v_pk_add_f16 v62, v52, v40 neg_lo:[0,1] neg_hi:[0,1]
	v_pk_fma_f16 v2, v59, 0.5, v51 op_sel_hi:[1,0,1] neg_lo:[1,0,0] neg_hi:[1,0,0]
	v_pk_mul_f16 v56, 0x3b9c, v60 op_sel_hi:[0,1]
	v_sub_f16_e32 v1, v46, v43
	v_sub_f16_e32 v57, v36, v39
	v_fmamk_f16 v53, v54, 0xbb9c, v33
	v_sub_f16_e32 v58, v35, v37
	v_fmac_f16_e32 v33, 0x3b9c, v54
	v_pk_add_f16 v59, v38, v52 neg_lo:[0,1] neg_hi:[0,1]
	v_pk_mul_f16 v63, 0x38b4, v62 op_sel_hi:[0,1]
	v_pk_add_f16 v64, v42, v40 neg_lo:[0,1] neg_hi:[0,1]
	v_pk_add_f16 v65, v2, v56 op_sel:[0,1] op_sel_hi:[1,0] neg_lo:[0,1] neg_hi:[0,1]
	v_pk_add_f16 v2, v56, v2 op_sel:[1,0] op_sel_hi:[0,1]
	v_fmac_f16_e32 v53, 0x38b4, v1
	v_add_f16_e32 v56, v58, v57
	v_fmac_f16_e32 v33, 0xb8b4, v1
	v_pk_add_f16 v58, v64, v59
	v_pk_add_f16 v57, v63, v65 op_sel:[1,0] op_sel_hi:[0,1]
	v_pk_add_f16 v2, v2, v63 op_sel:[0,1] op_sel_hi:[1,0] neg_lo:[0,1] neg_hi:[0,1]
	v_fmac_f16_e32 v53, 0x34f2, v56
	v_fmac_f16_e32 v33, 0x34f2, v56
	v_pk_add_f16 v59, v52, v38 neg_lo:[0,1] neg_hi:[0,1]
	v_pk_fma_f16 v57, 0x34f2, v58, v57 op_sel_hi:[0,1,1]
	v_pk_fma_f16 v56, 0x34f2, v58, v2 op_sel_hi:[0,1,1]
	v_pk_add_f16 v58, v40, v42 neg_lo:[0,1] neg_hi:[0,1]
	v_add_f16_e32 v66, v42, v38
	v_lshrrev_b32_e32 v2, 16, v51
	v_add_f16_sdwa v63, v42, v38 dst_sel:DWORD dst_unused:UNUSED_PAD src0_sel:WORD_1 src1_sel:WORD_1
	v_lshrrev_b32_e32 v68, 16, v62
	v_pk_add_f16 v58, v58, v59
	v_fma_f16 v66, -0.5, v66, v51
	v_mul_f16_e32 v64, 0x34f2, v57
	v_lshrrev_b32_e32 v65, 16, v56
	v_add_f16_sdwa v59, v52, v2 dst_sel:DWORD dst_unused:UNUSED_PAD src0_sel:WORD_1 src1_sel:DWORD
	v_bfi_b32 v58, 0xffff, v58, v60
	v_fmac_f16_e32 v2, -0.5, v63
	v_sub_f16_sdwa v67, v52, v38 dst_sel:DWORD dst_unused:UNUSED_PAD src0_sel:WORD_1 src1_sel:WORD_1
	v_add_f16_e32 v51, v52, v51
	v_fmac_f16_e32 v64, 0x3b9c, v65
	v_pk_mul_f16 v52, 0x38b434f2, v58
	v_fmamk_f16 v58, v68, 0x3b9c, v66
	v_mul_f16_e32 v63, 0x34f2, v56
	v_lshrrev_b32_e32 v65, 16, v57
	v_sub_f16_sdwa v69, v40, v42 dst_sel:DWORD dst_unused:UNUSED_PAD src0_sel:WORD_1 src1_sel:WORD_1
	v_fmamk_f16 v70, v62, 0xbb9c, v2
	v_add_f16_sdwa v58, v52, v58 dst_sel:DWORD dst_unused:UNUSED_PAD src0_sel:WORD_1 src1_sel:DWORD
	v_add_f16_e32 v51, v38, v51
	v_fma_f16 v63, v65, 0x3b9c, -v63
	v_add_f16_e32 v65, v69, v67
	v_add_f16_e32 v55, v36, v55
	v_fmamk_f16 v71, v1, 0x3b9c, v0
	v_fmac_f16_e32 v70, 0xb8b4, v60
	v_add_f16_e32 v58, v52, v58
	v_add_f16_e32 v51, v42, v51
	v_fmac_f16_e32 v66, 0xbb9c, v68
	v_add_f16_e32 v55, v35, v55
	v_fmac_f16_e32 v71, 0x38b4, v54
	v_fmac_f16_e32 v70, 0x34f2, v65
	v_mul_f16_e32 v72, 0x3a79, v58
	v_add_f16_e32 v73, v40, v51
	v_fmac_f16_e32 v2, 0x3b9c, v62
	v_sub_f16_sdwa v51, v66, v52 dst_sel:DWORD dst_unused:UNUSED_PAD src0_sel:DWORD src1_sel:WORD_1
	v_add_f16_e32 v55, v37, v55
	v_fmac_f16_e32 v71, 0x34f2, v61
	v_fmac_f16_e32 v72, 0x38b4, v70
	;; [unrolled: 1-line block ×4, first 2 shown]
	v_add_f16_e32 v51, v52, v51
	v_add_f16_e32 v67, v53, v64
	;; [unrolled: 1-line block ×5, first 2 shown]
	v_mul_u32_u24_e32 v66, 10, v28
	v_fmac_f16_e32 v0, 0xb8b4, v54
	v_fmac_f16_e32 v2, 0x34f2, v65
	v_mul_f16_e32 v54, 0x3a79, v51
	v_pack_b32_f16 v67, v67, v69
	v_pack_b32_f16 v52, v68, v62
	v_lshl_add_u32 v1, v66, 1, 0
	v_fmac_f16_e32 v0, 0x34f2, v61
	v_fma_f16 v54, v2, 0x38b4, -v54
	v_sub_f16_e32 v60, v19, v20
	v_sub_f16_e32 v61, v71, v72
	ds_write2_b32 v1, v52, v67 offset1:1
	v_sub_f16_e32 v52, v55, v73
	v_sub_f16_e32 v55, v14, v18
	;; [unrolled: 1-line block ×3, first 2 shown]
	v_add_f16_e32 v62, v0, v54
	v_add_f16_e32 v64, v20, v18
	s_waitcnt vmcnt(2)
	v_pk_add_f16 v66, v32, v23 neg_lo:[0,1] neg_hi:[0,1]
	v_add_f16_e32 v60, v60, v55
	v_add_f16_e32 v55, v19, v14
	v_pack_b32_f16 v53, v61, v53
	v_pack_b32_f16 v52, v62, v52
	v_fma_f16 v61, -0.5, v64, v29
	v_add_f16_e32 v62, v14, v29
	v_fmac_f16_e32 v29, -0.5, v55
	v_sub_f16_e32 v55, v18, v14
	v_sub_f16_e32 v64, v20, v19
	ds_write2_b32 v1, v52, v53 offset0:2 offset1:3
	v_pk_add_f16 v52, v17, v49
	v_sub_f16_e32 v65, v30, v22
	v_pk_add_f16 v67, v49, v17 neg_lo:[0,1] neg_hi:[0,1]
	v_add_f16_e32 v53, v64, v55
	v_pk_mul_f16 v55, 0x3b9c, v66 op_sel_hi:[0,1]
	v_pk_fma_f16 v52, v52, 0.5, v50 op_sel_hi:[1,0,1] neg_lo:[1,0,0] neg_hi:[1,0,0]
	v_fmamk_f16 v64, v65, 0xbb9c, v29
	v_fmac_f16_e32 v29, 0x3b9c, v65
	v_sub_f16_e32 v68, v31, v21
	v_pk_add_f16 v69, v32, v49 neg_lo:[0,1] neg_hi:[0,1]
	v_pk_add_f16 v71, v23, v17 neg_lo:[0,1] neg_hi:[0,1]
	v_pk_add_f16 v72, v55, v52 op_sel:[1,0] op_sel_hi:[0,1]
	v_pk_mul_f16 v73, 0x38b4, v67 op_sel_hi:[0,1]
	v_pk_add_f16 v52, v52, v55 op_sel:[0,1] op_sel_hi:[1,0] neg_lo:[0,1] neg_hi:[0,1]
	v_fmac_f16_e32 v64, 0x38b4, v68
	v_fmac_f16_e32 v29, 0xb8b4, v68
	v_pk_add_f16 v69, v71, v69
	v_pk_add_f16 v71, v72, v73 op_sel:[0,1] op_sel_hi:[1,0] neg_lo:[0,1] neg_hi:[0,1]
	v_pk_add_f16 v52, v73, v52 op_sel:[1,0] op_sel_hi:[0,1]
	v_pk_add_f16 v72, v49, v32 neg_lo:[0,1] neg_hi:[0,1]
	v_pk_add_f16 v73, v17, v23 neg_lo:[0,1] neg_hi:[0,1]
	v_fmac_f16_e32 v64, 0x34f2, v53
	v_fmac_f16_e32 v29, 0x34f2, v53
	v_pk_fma_f16 v55, 0x34f2, v69, v52 op_sel_hi:[0,1,1]
	v_pk_fma_f16 v53, 0x34f2, v69, v71 op_sel_hi:[0,1,1]
	v_lshrrev_b32_e32 v69, 16, v50
	v_add_f16_sdwa v71, v23, v32 dst_sel:DWORD dst_unused:UNUSED_PAD src0_sel:WORD_1 src1_sel:WORD_1
	v_pk_add_f16 v52, v73, v72
	v_mul_f16_e32 v72, 0x34f2, v55
	v_lshrrev_b32_e32 v73, 16, v53
	v_mul_f16_e32 v74, 0x34f2, v53
	v_lshrrev_b32_e32 v75, 16, v55
	v_add_f16_sdwa v76, v49, v69 dst_sel:DWORD dst_unused:UNUSED_PAD src0_sel:WORD_1 src1_sel:DWORD
	v_fmac_f16_e32 v69, -0.5, v71
	v_add_f16_e32 v71, v23, v32
	v_fmac_f16_e32 v72, 0x3b9c, v73
	v_fma_f16 v73, v75, 0x3b9c, -v74
	v_sub_f16_sdwa v74, v49, v32 dst_sel:DWORD dst_unused:UNUSED_PAD src0_sel:WORD_1 src1_sel:WORD_1
	v_add_f16_e32 v49, v49, v50
	v_fma_f16 v71, -0.5, v71, v50
	v_bfi_b32 v50, 0xffff, v52, v66
	v_lshrrev_b32_e32 v52, 16, v67
	v_add_f16_e32 v62, v18, v62
	v_sub_f16_sdwa v75, v17, v23 dst_sel:DWORD dst_unused:UNUSED_PAD src0_sel:WORD_1 src1_sel:WORD_1
	v_fmamk_f16 v79, v67, 0xbb9c, v69
	v_pk_mul_f16 v50, 0x38b434f2, v50
	v_fmamk_f16 v77, v52, 0x3b9c, v71
	v_add_f16_e32 v62, v20, v62
	v_fmac_f16_e32 v71, 0xbb9c, v52
	v_add_f16_e32 v74, v75, v74
	v_fmamk_f16 v78, v68, 0x3b9c, v61
	v_add_f16_sdwa v77, v50, v77 dst_sel:DWORD dst_unused:UNUSED_PAD src0_sel:WORD_1 src1_sel:DWORD
	v_add_f16_e32 v49, v32, v49
	v_fmac_f16_e32 v79, 0xb8b4, v66
	v_add_f16_e32 v52, v19, v62
	v_fmac_f16_e32 v69, 0x3b9c, v67
	v_add_f16_e32 v77, v50, v77
	v_sub_f16_sdwa v62, v71, v50 dst_sel:DWORD dst_unused:UNUSED_PAD src0_sel:DWORD src1_sel:WORD_1
	v_fmac_f16_e32 v78, 0x38b4, v65
	v_add_f16_e32 v49, v23, v49
	v_fmac_f16_e32 v79, 0x34f2, v74
	v_fmac_f16_e32 v61, 0xbb9c, v68
	;; [unrolled: 1-line block ×3, first 2 shown]
	v_add_f16_e32 v71, v50, v62
	v_mul_f16_e32 v50, 0x3a79, v77
	v_fmac_f16_e32 v78, 0x34f2, v60
	v_add_f16_e32 v49, v17, v49
	v_fmac_f16_e32 v61, 0xb8b4, v65
	v_fmac_f16_e32 v69, 0x34f2, v74
	v_mul_f16_e32 v62, 0x3a79, v71
	v_fmac_f16_e32 v50, 0x38b4, v79
	v_add_f16_e32 v66, v49, v52
	v_fmac_f16_e32 v61, 0x34f2, v60
	v_add_f16_e32 v75, v64, v72
	v_fma_f16 v60, v69, 0x38b4, -v62
	v_add_f16_e32 v62, v78, v50
	v_add_f16_e32 v65, v29, v73
	v_sub_f16_e32 v67, v8, v6
	v_sub_f16_e32 v50, v78, v50
	;; [unrolled: 1-line block ×3, first 2 shown]
	v_pack_b32_f16 v62, v66, v62
	v_sub_f16_e32 v66, v10, v4
	v_sub_f16_e32 v49, v52, v49
	v_add_f16_e32 v52, v61, v60
	v_pack_b32_f16 v65, v75, v65
	s_waitcnt vmcnt(0)
	v_pk_add_f16 v75, v16, v15 neg_lo:[0,1] neg_hi:[0,1]
	v_add_f16_e32 v66, v67, v66
	v_pk_add_f16 v67, v11, v48
	v_pack_b32_f16 v50, v50, v64
	v_add_f16_e32 v64, v6, v4
	v_pack_b32_f16 v49, v52, v49
	v_add_f16_e32 v52, v8, v10
	v_pk_fma_f16 v67, v67, 0.5, v47 op_sel_hi:[1,0,1] neg_lo:[1,0,0] neg_hi:[1,0,0]
	v_pk_mul_f16 v78, 0x3b9c, v75 op_sel_hi:[0,1]
	v_pk_add_f16 v80, v48, v11 neg_lo:[0,1] neg_hi:[0,1]
	v_fma_f16 v64, -0.5, v64, v34
	v_add_f16_e32 v68, v10, v34
	v_fmac_f16_e32 v34, -0.5, v52
	v_sub_f16_e32 v52, v4, v10
	v_sub_f16_e32 v72, v6, v8
	;; [unrolled: 1-line block ×3, first 2 shown]
	v_pk_add_f16 v82, v16, v48 neg_lo:[0,1] neg_hi:[0,1]
	v_pk_add_f16 v83, v15, v11 neg_lo:[0,1] neg_hi:[0,1]
	v_pk_add_f16 v84, v78, v67 op_sel:[1,0] op_sel_hi:[0,1]
	v_pk_mul_f16 v85, 0x38b4, v80 op_sel_hi:[0,1]
	v_pk_add_f16 v67, v67, v78 op_sel:[0,1] op_sel_hi:[1,0] neg_lo:[0,1] neg_hi:[0,1]
	v_add_f16_e32 v52, v72, v52
	v_fmamk_f16 v72, v74, 0xbb9c, v34
	v_fmac_f16_e32 v34, 0x3b9c, v74
	v_sub_f16_e32 v81, v13, v7
	v_pk_add_f16 v78, v83, v82
	v_pk_add_f16 v82, v84, v85 op_sel:[0,1] op_sel_hi:[1,0] neg_lo:[0,1] neg_hi:[0,1]
	v_pk_add_f16 v67, v85, v67 op_sel:[1,0] op_sel_hi:[0,1]
	v_pk_add_f16 v83, v48, v16 neg_lo:[0,1] neg_hi:[0,1]
	v_fmac_f16_e32 v72, 0x38b4, v81
	v_fmac_f16_e32 v34, 0xb8b4, v81
	v_pk_add_f16 v84, v11, v15 neg_lo:[0,1] neg_hi:[0,1]
	v_pk_fma_f16 v85, 0x34f2, v78, v67 op_sel_hi:[0,1,1]
	v_pk_fma_f16 v78, 0x34f2, v78, v82 op_sel_hi:[0,1,1]
	v_lshrrev_b32_e32 v82, 16, v47
	v_add_f16_sdwa v67, v15, v16 dst_sel:DWORD dst_unused:UNUSED_PAD src0_sel:WORD_1 src1_sel:WORD_1
	v_fmac_f16_e32 v72, 0x34f2, v52
	v_fmac_f16_e32 v34, 0x34f2, v52
	v_pk_add_f16 v52, v84, v83
	v_mul_f16_e32 v83, 0x34f2, v85
	v_lshrrev_b32_e32 v84, 16, v78
	v_mul_f16_e32 v86, 0x34f2, v78
	v_lshrrev_b32_e32 v87, 16, v85
	v_add_f16_sdwa v88, v48, v82 dst_sel:DWORD dst_unused:UNUSED_PAD src0_sel:WORD_1 src1_sel:DWORD
	v_fmac_f16_e32 v82, -0.5, v67
	v_add_f16_e32 v67, v15, v16
	v_fmac_f16_e32 v83, 0x3b9c, v84
	v_sub_f16_sdwa v84, v48, v16 dst_sel:DWORD dst_unused:UNUSED_PAD src0_sel:WORD_1 src1_sel:WORD_1
	v_sub_f16_sdwa v89, v11, v15 dst_sel:DWORD dst_unused:UNUSED_PAD src0_sel:WORD_1 src1_sel:WORD_1
	v_fma_f16 v86, v87, 0x3b9c, -v86
	v_fma_f16 v67, -0.5, v67, v47
	v_bfi_b32 v52, 0xffff, v52, v75
	v_lshrrev_b32_e32 v87, 16, v80
	v_add_f16_e32 v47, v48, v47
	v_add_f16_e32 v48, v89, v84
	v_fmamk_f16 v84, v81, 0x3b9c, v64
	v_pk_mul_f16 v52, 0x38b434f2, v52
	v_fmac_f16_e32 v64, 0xbb9c, v81
	v_fmamk_f16 v81, v80, 0xbb9c, v82
	v_fmac_f16_e32 v82, 0x3b9c, v80
	v_fmamk_f16 v80, v87, 0x3b9c, v67
	v_fmac_f16_e32 v67, 0xbb9c, v87
	v_add_f16_e32 v68, v4, v68
	v_add_f16_e32 v47, v16, v47
	v_fmac_f16_e32 v81, 0xb8b4, v75
	v_add_f16_sdwa v80, v52, v80 dst_sel:DWORD dst_unused:UNUSED_PAD src0_sel:WORD_1 src1_sel:DWORD
	v_sub_f16_sdwa v67, v67, v52 dst_sel:DWORD dst_unused:UNUSED_PAD src0_sel:DWORD src1_sel:WORD_1
	v_fmac_f16_e32 v84, 0x38b4, v74
	v_add_f16_e32 v68, v6, v68
	v_add_f16_e32 v47, v15, v47
	;; [unrolled: 1-line block ×3, first 2 shown]
	v_fmac_f16_e32 v81, 0x34f2, v48
	v_fmac_f16_e32 v82, 0x38b4, v75
	v_add_f16_e32 v89, v52, v67
	v_fmac_f16_e32 v64, 0xb8b4, v74
	v_mul_f16_e32 v75, 0x3a79, v80
	v_add_f16_e32 v67, v8, v68
	v_fmac_f16_e32 v84, 0x34f2, v66
	v_add_f16_e32 v47, v11, v47
	v_fmac_f16_e32 v82, 0x34f2, v48
	v_fmac_f16_e32 v75, 0x38b4, v81
	v_mul_f16_e32 v48, 0x3a79, v89
	v_fmac_f16_e32 v64, 0x34f2, v66
	v_add_f16_e32 v68, v47, v67
	v_add_f16_e32 v74, v72, v83
	v_add_f16_e32 v66, v84, v75
	v_add_f16_e32 v52, v34, v86
	v_fma_f16 v48, v82, 0x38b4, -v48
	v_add_nc_u32_e32 v87, 0x960, v1
	v_sub_f16_e32 v72, v72, v83
	v_pack_b32_f16 v66, v68, v66
	v_add_f16_e32 v68, v46, v41
	v_pack_b32_f16 v52, v74, v52
	v_sub_f16_e32 v74, v84, v75
	v_sub_f16_e32 v47, v67, v47
	v_add_f16_e32 v67, v64, v48
	v_add_nc_u32_e32 v75, 0x968, v1
	ds_write2_b32 v87, v62, v65 offset1:1
	v_add_f16_e32 v62, v45, v68
	v_add_nc_u32_e32 v83, 0x12c0, v1
	v_pack_b32_f16 v72, v74, v72
	v_pack_b32_f16 v47, v67, v47
	v_add_nc_u32_e32 v74, 0x12c8, v1
	ds_write2_b32 v75, v49, v50 offset1:1
	ds_write2_b32 v83, v66, v52 offset1:1
	;; [unrolled: 1-line block ×3, first 2 shown]
	v_sub_f16_e32 v37, v39, v37
	v_add_f16_e32 v39, v44, v62
	v_add_f16_e32 v47, v44, v45
	;; [unrolled: 1-line block ×3, first 2 shown]
	v_sub_f16_e32 v36, v36, v35
	v_add_f16_sdwa v35, v38, v59 dst_sel:DWORD dst_unused:UNUSED_PAD src0_sel:WORD_1 src1_sel:DWORD
	v_add_f16_e32 v38, v43, v39
	v_fma_f16 v39, -0.5, v47, v41
	v_fmac_f16_e32 v41, -0.5, v49
	v_sub_f16_e32 v47, v46, v45
	v_sub_f16_e32 v45, v45, v46
	;; [unrolled: 1-line block ×4, first 2 shown]
	v_fmamk_f16 v44, v36, 0x3b9c, v41
	v_fmac_f16_e32 v41, 0xbb9c, v36
	v_mul_f16_e32 v72, 0xb8b4, v58
	v_add_f16_sdwa v35, v42, v35 dst_sel:DWORD dst_unused:UNUSED_PAD src0_sel:WORD_1 src1_sel:DWORD
	v_add_f16_e32 v42, v43, v45
	v_fmac_f16_e32 v44, 0xb8b4, v37
	v_fmac_f16_e32 v41, 0x38b4, v37
	;; [unrolled: 1-line block ×3, first 2 shown]
	v_fmamk_f16 v70, v37, 0xbb9c, v39
	v_add_f16_e32 v49, v46, v47
	v_add_f16_sdwa v84, v40, v35 dst_sel:DWORD dst_unused:UNUSED_PAD src0_sel:WORD_1 src1_sel:DWORD
	v_sub_f16_e32 v0, v0, v54
	v_pack_b32_f16 v35, v41, v44
	v_mul_f16_e32 v40, 0x34f2, v42
	v_pk_mul_f16 v43, 0x34f23b9c, v57
	v_sub_f16_e32 v33, v33, v63
	v_fmac_f16_e32 v70, 0xb8b4, v36
	v_sub_f16_e32 v41, v61, v60
	v_sub_f16_e32 v42, v64, v48
	v_pk_add_f16 v90, v40, v35 op_sel_hi:[0,1]
	v_sub_f16_e32 v29, v29, v73
	v_pk_fma_f16 v73, 0x34f2bb9c, v56, v43 op_sel:[0,0,1] op_sel_hi:[1,1,0] neg_lo:[0,0,1] neg_hi:[0,0,1]
	v_sub_f16_e32 v34, v34, v86
	v_pack_b32_f16 v0, v33, v0
	v_fmac_f16_e32 v70, 0x34f2, v49
	v_pack_b32_f16 v29, v29, v41
	v_pk_add_f16 v35, v90, v73
	v_pack_b32_f16 v33, v34, v42
	v_add_f16_e32 v34, v84, v38
	ds_write_b32 v1, v0 offset:16
	v_add_f16_e32 v0, v70, v72
	v_fmac_f16_e32 v39, 0x3b9c, v37
	ds_write_b32 v1, v29 offset:2416
	v_mad_i32_i24 v29, 0xffffffee, v28, v1
	v_alignbit_b32 v86, v35, v35, 16
	v_pack_b32_f16 v0, v34, v0
	v_fmac_f16_e32 v39, 0x38b4, v36
	v_mul_f16_e32 v2, 0x3a79, v2
	s_load_dwordx2 s[2:3], s[2:3], 0x0
	ds_write_b32 v1, v33 offset:4816
	s_waitcnt lgkmcnt(0)
	s_barrier
	buffer_gl0_inv
	ds_read_u16 v35, v29
	ds_read_u16 v34, v29 offset:240
	ds_read_u16 v48, v29 offset:3840
	ds_read_u16 v57, v29 offset:5760
	ds_read_u16 v44, v29 offset:6000
	ds_read_u16 v54, v29 offset:1680
	ds_read_u16 v65, v29 offset:1440
	ds_read_u16 v42, v29 offset:1200
	ds_read_u16 v58, v29 offset:960
	ds_read_u16 v67, v29 offset:720
	ds_read_u16 v33, v29 offset:480
	ds_read_u16 v62, v29 offset:3600
	ds_read_u16 v40, v29 offset:3360
	ds_read_u16 v56, v29 offset:3120
	ds_read_u16 v64, v29 offset:2880
	ds_read_u16 v43, v29 offset:2640
	ds_read_u16 v59, v29 offset:2400
	ds_read_u16 v66, v29 offset:2160
	ds_read_u16 v46, v29 offset:1920
	ds_read_u16 v45, v29 offset:5520
	ds_read_u16 v60, v29 offset:5280
	ds_read_u16 v63, v29 offset:5040
	ds_read_u16 v47, v29 offset:4800
	ds_read_u16 v61, v29 offset:4560
	ds_read_u16 v68, v29 offset:4320
	ds_read_u16 v52, v29 offset:4080
	ds_read_u16 v41, v29 offset:6960
	v_fmac_f16_e32 v39, 0x34f2, v49
	v_fma_f16 v2, v51, 0xb8b4, -v2
	ds_read_u16 v49, v29 offset:6720
	ds_read_u16 v50, v29 offset:6480
	;; [unrolled: 1-line block ×3, first 2 shown]
	s_waitcnt lgkmcnt(0)
	s_barrier
	buffer_gl0_inv
	ds_write2_b32 v1, v0, v86 offset1:1
	v_sub_f16_e32 v0, v38, v84
	v_add_f16_e32 v37, v31, v5
	v_add_f16_e32 v38, v22, v30
	v_sub_f16_e32 v14, v14, v19
	v_sub_f16_e32 v18, v18, v20
	v_add_f16_e32 v36, v39, v2
	v_add_f16_e32 v37, v30, v37
	v_fma_f16 v20, -0.5, v38, v5
	v_sub_f16_e32 v2, v39, v2
	v_sub_f16_e32 v19, v31, v30
	;; [unrolled: 1-line block ×3, first 2 shown]
	v_add_f16_e32 v84, v21, v31
	v_add_f16_e32 v37, v22, v37
	v_sub_f16_e32 v30, v30, v31
	v_fmamk_f16 v31, v14, 0xbb9c, v20
	v_fmac_f16_e32 v20, 0x3b9c, v14
	v_add_f16_e32 v19, v39, v19
	v_fmac_f16_e32 v5, -0.5, v84
	v_add_f16_e32 v37, v21, v37
	v_sub_f16_e32 v21, v22, v21
	v_add_f16_sdwa v22, v32, v76 dst_sel:DWORD dst_unused:UNUSED_PAD src0_sel:WORD_1 src1_sel:DWORD
	v_fmac_f16_e32 v31, 0xb8b4, v18
	v_fmac_f16_e32 v20, 0x38b4, v18
	v_fmamk_f16 v32, v18, 0x3b9c, v5
	v_fmac_f16_e32 v5, 0xbb9c, v18
	v_add_f16_sdwa v18, v23, v22 dst_sel:DWORD dst_unused:UNUSED_PAD src0_sel:WORD_1 src1_sel:DWORD
	v_fmac_f16_e32 v31, 0x34f2, v19
	v_fmac_f16_e32 v20, 0x34f2, v19
	v_mul_f16_e32 v19, 0x3a79, v69
	v_add_f16_e32 v23, v9, v12
	v_add_f16_sdwa v17, v17, v18 dst_sel:DWORD dst_unused:UNUSED_PAD src0_sel:WORD_1 src1_sel:DWORD
	v_fmac_f16_e32 v32, 0xb8b4, v14
	v_fmac_f16_e32 v5, 0x38b4, v14
	v_fma_f16 v18, v71, 0xb8b4, -v19
	v_sub_f16_e32 v8, v10, v8
	v_add_f16_e32 v14, v17, v37
	v_sub_f16_e32 v17, v37, v17
	v_add_f16_e32 v37, v7, v13
	v_add_f16_e32 v19, v20, v18
	v_sub_f16_e32 v18, v20, v18
	v_add_f16_e32 v20, v13, v3
	v_sub_f16_e32 v4, v4, v6
	v_fma_f16 v6, -0.5, v23, v3
	v_add_f16_e32 v21, v21, v30
	v_sub_f16_e32 v10, v13, v12
	v_add_f16_e32 v20, v12, v20
	v_sub_f16_e32 v30, v7, v9
	v_fmac_f16_e32 v3, -0.5, v37
	v_sub_f16_e32 v12, v12, v13
	v_fmamk_f16 v13, v8, 0xbb9c, v6
	v_add_f16_e32 v20, v9, v20
	v_fmac_f16_e32 v6, 0x3b9c, v8
	v_add_f16_e32 v10, v30, v10
	v_mul_f16_e32 v22, 0xb8b4, v77
	v_fmac_f16_e32 v13, 0xb8b4, v4
	v_add_f16_e32 v20, v7, v20
	v_sub_f16_e32 v7, v9, v7
	v_add_f16_sdwa v9, v16, v88 dst_sel:DWORD dst_unused:UNUSED_PAD src0_sel:WORD_1 src1_sel:DWORD
	v_fmac_f16_e32 v6, 0x38b4, v4
	v_fmamk_f16 v16, v4, 0x3b9c, v3
	v_fmac_f16_e32 v3, 0xbb9c, v4
	v_add_f16_e32 v7, v7, v12
	v_add_f16_sdwa v4, v15, v9 dst_sel:DWORD dst_unused:UNUSED_PAD src0_sel:WORD_1 src1_sel:DWORD
	v_mul_f16_e32 v9, 0x3a79, v82
	v_fmac_f16_e32 v6, 0x34f2, v10
	v_pack_b32_f16 v5, v5, v32
	v_mul_f16_e32 v12, 0x34f2, v21
	v_add_f16_sdwa v4, v11, v4 dst_sel:DWORD dst_unused:UNUSED_PAD src0_sel:WORD_1 src1_sel:DWORD
	v_fma_f16 v9, v89, 0xb8b4, -v9
	v_pk_mul_f16 v15, 0x34f23b9c, v55
	v_fmac_f16_e32 v22, 0x3a79, v79
	v_fmac_f16_e32 v16, 0xb8b4, v8
	v_fmac_f16_e32 v3, 0x38b4, v8
	v_add_f16_e32 v8, v4, v20
	v_sub_f16_e32 v4, v20, v4
	v_add_f16_e32 v11, v6, v9
	v_bfi_b32 v20, 0xffff, v70, v90
	v_bfi_b32 v21, 0xffff, v72, v73
	v_sub_f16_e32 v6, v6, v9
	v_pk_add_f16 v5, v12, v5 op_sel_hi:[0,1]
	v_pk_fma_f16 v9, 0x34f2bb9c, v53, v15 op_sel:[0,0,1] op_sel_hi:[1,1,0] neg_lo:[0,0,1] neg_hi:[0,0,1]
	v_sub_f16_e32 v12, v90, v73
	v_pk_add_f16 v15, v20, v21 neg_lo:[0,1] neg_hi:[0,1]
	v_add_f16_e32 v20, v31, v22
	v_bfi_b32 v21, 0xffff, v31, v5
	v_pk_add_f16 v23, v5, v9
	v_bfi_b32 v22, 0xffff, v22, v9
	v_sub_f16_e32 v5, v5, v9
	v_and_b32_e32 v9, 0xff, v28
	v_fmac_f16_e32 v13, 0x34f2, v10
	v_mul_f16_e32 v10, 0xb8b4, v80
	v_pack_b32_f16 v3, v3, v16
	v_mul_f16_e32 v7, 0x34f2, v7
	v_mul_lo_u16 v9, 0xcd, v9
	v_pk_mul_f16 v16, 0x34f23b9c, v85
	v_pack_b32_f16 v0, v36, v0
	v_pack_b32_f16 v2, v12, v2
	v_alignbit_b32 v23, v23, v23, 16
	v_lshrrev_b16 v36, 11, v9
	v_pack_b32_f16 v14, v14, v20
	v_fmac_f16_e32 v10, 0x3a79, v81
	v_pk_add_f16 v3, v7, v3 op_sel_hi:[0,1]
	v_pk_fma_f16 v7, 0x34f2bb9c, v78, v16 op_sel:[0,0,1] op_sel_hi:[1,1,0] neg_lo:[0,0,1] neg_hi:[0,0,1]
	v_pk_add_f16 v16, v21, v22 neg_lo:[0,1] neg_hi:[0,1]
	v_pack_b32_f16 v9, v19, v17
	ds_write2_b32 v1, v0, v15 offset0:2 offset1:3
	ds_write_b32 v1, v2 offset:16
	ds_write2_b32 v87, v14, v23 offset1:1
	v_mul_lo_u16 v0, v36, 10
	v_add_nc_u16 v30, v28, 0x78
	v_add_f16_e32 v21, v13, v10
	v_pk_add_f16 v22, v3, v7
	v_sub_f16_e32 v12, v3, v7
	ds_write2_b32 v75, v9, v16 offset1:1
	v_pack_b32_f16 v2, v5, v18
	v_bfi_b32 v3, 0xffff, v13, v3
	v_bfi_b32 v5, 0xffff, v10, v7
	v_sub_nc_u16 v37, v28, v0
	v_mov_b32_e32 v9, 9
	v_and_b32_e32 v32, 0xff, v30
	v_alignbit_b32 v0, v22, v22, 16
	v_pack_b32_f16 v7, v8, v21
	v_pk_add_f16 v3, v3, v5 neg_lo:[0,1] neg_hi:[0,1]
	v_mul_u32_u24_sdwa v5, v37, v9 dst_sel:DWORD dst_unused:UNUSED_PAD src0_sel:BYTE_0 src1_sel:DWORD
	v_pack_b32_f16 v4, v11, v4
	ds_write_b32 v1, v2 offset:2416
	ds_write2_b32 v83, v7, v0 offset1:1
	ds_write2_b32 v74, v4, v3 offset1:1
	v_mul_lo_u16 v4, 0xcd, v32
	v_pack_b32_f16 v6, v12, v6
	v_lshlrev_b32_e32 v69, 2, v5
	v_add_nc_u32_e32 v31, 0xf0, v28
	v_cmp_gt_u32_e64 s0, 0x64, v28
	v_lshrrev_b16 v38, 11, v4
	ds_write_b32 v1, v6 offset:4816
	s_waitcnt lgkmcnt(0)
	s_barrier
	buffer_gl0_inv
	s_clause 0x1
	global_load_dwordx4 v[0:3], v69, s[12:13]
	global_load_dwordx4 v[4:7], v69, s[12:13] offset:16
	v_mul_lo_u16 v8, v38, 10
	v_sub_nc_u16 v39, v30, v8
	v_mul_u32_u24_sdwa v8, v39, v9 dst_sel:DWORD dst_unused:UNUSED_PAD src0_sel:BYTE_0 src1_sel:DWORD
	v_lshlrev_b32_e32 v71, 2, v8
	v_mov_b32_e32 v8, 0xcccd
	s_clause 0x1
	global_load_dwordx4 v[20:23], v71, s[12:13]
	global_load_dwordx4 v[16:19], v71, s[12:13] offset:16
	v_mul_u32_u24_sdwa v8, v31, v8 dst_sel:DWORD dst_unused:UNUSED_PAD src0_sel:WORD_0 src1_sel:DWORD
	v_lshrrev_b32_e32 v53, 19, v8
	v_mul_lo_u16 v8, v53, 10
	v_sub_nc_u16 v55, v31, v8
	v_mul_u32_u24_sdwa v8, v55, v9 dst_sel:DWORD dst_unused:UNUSED_PAD src0_sel:WORD_0 src1_sel:DWORD
	v_lshlrev_b32_e32 v72, 2, v8
	s_clause 0x4
	global_load_dwordx4 v[8:11], v72, s[12:13]
	global_load_dwordx4 v[12:15], v72, s[12:13] offset:16
	global_load_dword v70, v69, s[12:13] offset:32
	global_load_dword v69, v71, s[12:13] offset:32
	;; [unrolled: 1-line block ×3, first 2 shown]
	ds_read_u16 v79, v29 offset:720
	ds_read_u16 v78, v29 offset:1440
	;; [unrolled: 1-line block ×13, first 2 shown]
	s_waitcnt vmcnt(8) lgkmcnt(12)
	v_mul_f16_sdwa v81, v79, v0 dst_sel:DWORD dst_unused:UNUSED_PAD src0_sel:DWORD src1_sel:WORD_1
	v_mul_f16_sdwa v85, v67, v0 dst_sel:DWORD dst_unused:UNUSED_PAD src0_sel:DWORD src1_sel:WORD_1
	;; [unrolled: 1-line block ×4, first 2 shown]
	s_waitcnt vmcnt(7)
	v_mul_f16_sdwa v97, v68, v5 dst_sel:DWORD dst_unused:UNUSED_PAD src0_sel:DWORD src1_sel:WORD_1
	v_fma_f16 v81, v67, v0, -v81
	s_waitcnt lgkmcnt(11)
	v_mul_f16_sdwa v67, v78, v1 dst_sel:DWORD dst_unused:UNUSED_PAD src0_sel:DWORD src1_sel:WORD_1
	v_fmac_f16_e32 v85, v79, v0
	ds_read_u16 v0, v29 offset:5040
	ds_read_u16 v88, v29 offset:2640
	;; [unrolled: 1-line block ×3, first 2 shown]
	v_fmac_f16_e32 v87, v78, v1
	v_fma_f16 v79, v65, v1, -v67
	ds_read_u16 v67, v29 offset:5760
	s_waitcnt lgkmcnt(14)
	v_mul_f16_sdwa v65, v77, v2 dst_sel:DWORD dst_unused:UNUSED_PAD src0_sel:DWORD src1_sel:WORD_1
	v_mul_f16_sdwa v78, v66, v2 dst_sel:DWORD dst_unused:UNUSED_PAD src0_sel:DWORD src1_sel:WORD_1
	s_waitcnt lgkmcnt(13)
	v_mul_f16_sdwa v1, v76, v3 dst_sel:DWORD dst_unused:UNUSED_PAD src0_sel:DWORD src1_sel:WORD_1
	v_fmac_f16_e32 v90, v76, v3
	v_mul_f16_sdwa v76, v62, v4 dst_sel:DWORD dst_unused:UNUSED_PAD src0_sel:DWORD src1_sel:WORD_1
	v_fma_f16 v91, v66, v2, -v65
	v_fmac_f16_e32 v78, v77, v2
	ds_read_u16 v2, v29 offset:4560
	v_fma_f16 v77, v64, v3, -v1
	s_waitcnt lgkmcnt(7)
	v_mul_f16_sdwa v1, v83, v4 dst_sel:DWORD dst_unused:UNUSED_PAD src0_sel:DWORD src1_sel:WORD_1
	ds_read_u16 v92, v29 offset:5280
	ds_read_u16 v93, v29 offset:5520
	;; [unrolled: 1-line block ×5, first 2 shown]
	s_waitcnt lgkmcnt(10)
	v_mul_f16_sdwa v3, v86, v5 dst_sel:DWORD dst_unused:UNUSED_PAD src0_sel:DWORD src1_sel:WORD_1
	v_fmac_f16_e32 v97, v86, v5
	v_mul_f16_sdwa v86, v63, v6 dst_sel:DWORD dst_unused:UNUSED_PAD src0_sel:DWORD src1_sel:WORD_1
	v_fma_f16 v62, v62, v4, -v1
	s_waitcnt lgkmcnt(9)
	v_mul_f16_sdwa v1, v0, v6 dst_sel:DWORD dst_unused:UNUSED_PAD src0_sel:DWORD src1_sel:WORD_1
	v_fmac_f16_e32 v76, v83, v4
	ds_read_u16 v98, v29 offset:6960
	ds_read_u16 v4, v29 offset:6000
	;; [unrolled: 1-line block ×5, first 2 shown]
	v_fma_f16 v83, v68, v5, -v3
	s_waitcnt lgkmcnt(11)
	v_mul_f16_sdwa v3, v67, v7 dst_sel:DWORD dst_unused:UNUSED_PAD src0_sel:DWORD src1_sel:WORD_1
	v_fma_f16 v63, v63, v6, -v1
	v_mul_f16_sdwa v102, v57, v7 dst_sel:DWORD dst_unused:UNUSED_PAD src0_sel:DWORD src1_sel:WORD_1
	v_fmac_f16_e32 v86, v0, v6
	s_waitcnt vmcnt(6)
	v_mul_f16_sdwa v0, v75, v20 dst_sel:DWORD dst_unused:UNUSED_PAD src0_sel:DWORD src1_sel:WORD_1
	v_mul_f16_sdwa v1, v74, v21 dst_sel:DWORD dst_unused:UNUSED_PAD src0_sel:DWORD src1_sel:WORD_1
	v_fma_f16 v57, v57, v7, -v3
	v_fmac_f16_e32 v102, v67, v7
	v_mul_f16_sdwa v64, v54, v21 dst_sel:DWORD dst_unused:UNUSED_PAD src0_sel:DWORD src1_sel:WORD_1
	v_fma_f16 v3, v58, v20, -v0
	v_mul_f16_sdwa v0, v73, v22 dst_sel:DWORD dst_unused:UNUSED_PAD src0_sel:DWORD src1_sel:WORD_1
	v_fma_f16 v67, v54, v21, -v1
	v_mul_f16_sdwa v1, v82, v23 dst_sel:DWORD dst_unused:UNUSED_PAD src0_sel:DWORD src1_sel:WORD_1
	v_fmac_f16_e32 v64, v74, v21
	v_mul_f16_sdwa v65, v56, v23 dst_sel:DWORD dst_unused:UNUSED_PAD src0_sel:DWORD src1_sel:WORD_1
	v_fma_f16 v21, v59, v22, -v0
	s_waitcnt vmcnt(5) lgkmcnt(7)
	v_mul_f16_sdwa v0, v94, v16 dst_sel:DWORD dst_unused:UNUSED_PAD src0_sel:DWORD src1_sel:WORD_1
	v_fma_f16 v68, v56, v23, -v1
	v_mul_f16_sdwa v1, v2, v17 dst_sel:DWORD dst_unused:UNUSED_PAD src0_sel:DWORD src1_sel:WORD_1
	v_mul_f16_sdwa v6, v58, v20 dst_sel:DWORD dst_unused:UNUSED_PAD src0_sel:DWORD src1_sel:WORD_1
	;; [unrolled: 1-line block ×3, first 2 shown]
	v_fmac_f16_e32 v65, v82, v23
	v_mul_f16_sdwa v66, v61, v17 dst_sel:DWORD dst_unused:UNUSED_PAD src0_sel:DWORD src1_sel:WORD_1
	v_fma_f16 v23, v48, v16, -v0
	v_fma_f16 v74, v61, v17, -v1
	v_mul_f16_sdwa v0, v92, v18 dst_sel:DWORD dst_unused:UNUSED_PAD src0_sel:DWORD src1_sel:WORD_1
	s_waitcnt lgkmcnt(3)
	v_mul_f16_sdwa v1, v4, v19 dst_sel:DWORD dst_unused:UNUSED_PAD src0_sel:DWORD src1_sel:WORD_1
	v_fmac_f16_e32 v6, v75, v20
	v_fmac_f16_e32 v54, v73, v22
	v_mul_f16_sdwa v20, v48, v16 dst_sel:DWORD dst_unused:UNUSED_PAD src0_sel:DWORD src1_sel:WORD_1
	v_mul_f16_sdwa v22, v60, v18 dst_sel:DWORD dst_unused:UNUSED_PAD src0_sel:DWORD src1_sel:WORD_1
	v_mul_f16_sdwa v73, v44, v19 dst_sel:DWORD dst_unused:UNUSED_PAD src0_sel:DWORD src1_sel:WORD_1
	v_fmac_f16_e32 v66, v2, v17
	v_fma_f16 v48, v60, v18, -v0
	v_fma_f16 v17, v44, v19, -v1
	s_waitcnt vmcnt(4)
	v_mul_f16_sdwa v0, v72, v8 dst_sel:DWORD dst_unused:UNUSED_PAD src0_sel:DWORD src1_sel:WORD_1
	v_mul_f16_sdwa v1, v42, v8 dst_sel:DWORD dst_unused:UNUSED_PAD src0_sel:DWORD src1_sel:WORD_1
	;; [unrolled: 1-line block ×3, first 2 shown]
	v_fmac_f16_e32 v22, v92, v18
	v_fmac_f16_e32 v73, v4, v19
	v_mul_f16_sdwa v4, v89, v9 dst_sel:DWORD dst_unused:UNUSED_PAD src0_sel:DWORD src1_sel:WORD_1
	v_fma_f16 v0, v42, v8, -v0
	v_fmac_f16_e32 v1, v72, v8
	v_fma_f16 v18, v43, v10, -v5
	v_mul_f16_sdwa v19, v43, v10 dst_sel:DWORD dst_unused:UNUSED_PAD src0_sel:DWORD src1_sel:WORD_1
	v_mul_f16_sdwa v5, v84, v11 dst_sel:DWORD dst_unused:UNUSED_PAD src0_sel:DWORD src1_sel:WORD_1
	;; [unrolled: 1-line block ×3, first 2 shown]
	s_waitcnt vmcnt(3)
	v_mul_f16_sdwa v8, v96, v12 dst_sel:DWORD dst_unused:UNUSED_PAD src0_sel:DWORD src1_sel:WORD_1
	v_fmac_f16_e32 v20, v94, v16
	v_mul_f16_sdwa v2, v46, v9 dst_sel:DWORD dst_unused:UNUSED_PAD src0_sel:DWORD src1_sel:WORD_1
	v_fma_f16 v16, v46, v9, -v4
	v_mul_f16_sdwa v4, v52, v12 dst_sel:DWORD dst_unused:UNUSED_PAD src0_sel:DWORD src1_sel:WORD_1
	v_fmac_f16_e32 v19, v88, v10
	v_fma_f16 v10, v40, v11, -v5
	v_fmac_f16_e32 v7, v84, v11
	v_fma_f16 v40, v52, v12, -v8
	v_mul_f16_sdwa v8, v95, v13 dst_sel:DWORD dst_unused:UNUSED_PAD src0_sel:DWORD src1_sel:WORD_1
	v_mul_f16_sdwa v11, v93, v14 dst_sel:DWORD dst_unused:UNUSED_PAD src0_sel:DWORD src1_sel:WORD_1
	;; [unrolled: 1-line block ×3, first 2 shown]
	s_waitcnt vmcnt(1) lgkmcnt(1)
	v_mul_f16_sdwa v44, v100, v69 dst_sel:DWORD dst_unused:UNUSED_PAD src0_sel:DWORD src1_sel:WORD_1
	v_fmac_f16_e32 v2, v89, v9
	v_fmac_f16_e32 v4, v96, v12
	v_mul_f16_sdwa v9, v47, v13 dst_sel:DWORD dst_unused:UNUSED_PAD src0_sel:DWORD src1_sel:WORD_1
	v_mul_f16_sdwa v42, v99, v15 dst_sel:DWORD dst_unused:UNUSED_PAD src0_sel:DWORD src1_sel:WORD_1
	v_fma_f16 v12, v47, v13, -v8
	v_fma_f16 v43, v45, v14, -v11
	v_fmac_f16_e32 v5, v93, v14
	v_mul_f16_sdwa v11, v51, v15 dst_sel:DWORD dst_unused:UNUSED_PAD src0_sel:DWORD src1_sel:WORD_1
	s_waitcnt lgkmcnt(0)
	v_mul_f16_sdwa v8, v101, v70 dst_sel:DWORD dst_unused:UNUSED_PAD src0_sel:DWORD src1_sel:WORD_1
	v_mul_f16_sdwa v14, v49, v69 dst_sel:DWORD dst_unused:UNUSED_PAD src0_sel:DWORD src1_sel:WORD_1
	v_fma_f16 v44, v49, v69, -v44
	s_waitcnt vmcnt(0)
	v_mul_f16_sdwa v46, v98, v71 dst_sel:DWORD dst_unused:UNUSED_PAD src0_sel:DWORD src1_sel:WORD_1
	v_sub_f16_e32 v47, v79, v77
	v_sub_f16_e32 v49, v57, v83
	v_fmac_f16_e32 v9, v95, v13
	v_fma_f16 v13, v51, v15, -v42
	v_fmac_f16_e32 v11, v99, v15
	v_fma_f16 v45, v50, v70, -v8
	v_add_f16_e32 v15, v77, v83
	v_mul_f16_sdwa v8, v41, v71 dst_sel:DWORD dst_unused:UNUSED_PAD src0_sel:DWORD src1_sel:WORD_1
	v_fma_f16 v41, v41, v71, -v46
	v_add_f16_e32 v46, v47, v49
	v_add_f16_e32 v47, v79, v57
	ds_read_u16 v52, v29
	v_mul_f16_sdwa v42, v50, v70 dst_sel:DWORD dst_unused:UNUSED_PAD src0_sel:DWORD src1_sel:WORD_1
	v_fma_f16 v50, -0.5, v15, v35
	v_sub_f16_e32 v15, v87, v102
	v_sub_f16_e32 v51, v90, v97
	v_add_f16_e32 v56, v35, v79
	v_fmac_f16_e32 v35, -0.5, v47
	v_sub_f16_e32 v47, v77, v79
	v_fmamk_f16 v49, v15, 0x3b9c, v50
	v_fmac_f16_e32 v50, 0xbb9c, v15
	v_add_f16_e32 v56, v56, v77
	v_fmamk_f16 v59, v51, 0xbb9c, v35
	v_fmac_f16_e32 v35, 0x3b9c, v51
	v_fmac_f16_e32 v49, 0x38b4, v51
	v_sub_f16_e32 v58, v83, v57
	v_fmac_f16_e32 v50, 0xb8b4, v51
	v_fmac_f16_e32 v59, 0x38b4, v15
	;; [unrolled: 1-line block ×3, first 2 shown]
	v_add_f16_e32 v15, v56, v83
	v_add_f16_e32 v51, v90, v97
	v_add_f16_e32 v47, v47, v58
	v_fmac_f16_e32 v49, 0x34f2, v46
	v_fmac_f16_e32 v50, 0x34f2, v46
	v_add_f16_e32 v46, v15, v57
	ds_read_u16 v15, v29 offset:240
	v_sub_f16_e32 v56, v79, v57
	v_sub_f16_e32 v57, v87, v90
	;; [unrolled: 1-line block ×3, first 2 shown]
	s_waitcnt lgkmcnt(1)
	v_fma_f16 v51, -0.5, v51, v52
	v_add_f16_e32 v61, v87, v102
	v_fmac_f16_e32 v59, 0x34f2, v47
	v_fmac_f16_e32 v35, 0x34f2, v47
	v_add_f16_e32 v47, v52, v87
	v_sub_f16_e32 v60, v77, v83
	v_add_f16_e32 v57, v57, v58
	v_fmamk_f16 v58, v56, 0xbb9c, v51
	v_fmac_f16_e32 v51, 0x3b9c, v56
	v_fmac_f16_e32 v52, -0.5, v61
	v_fmac_f16_e32 v42, v101, v70
	v_fmac_f16_e32 v14, v100, v69
	v_sub_f16_e32 v61, v90, v87
	v_fmac_f16_e32 v58, 0xb8b4, v60
	v_fmac_f16_e32 v51, 0x38b4, v60
	v_sub_f16_e32 v69, v97, v102
	v_fmamk_f16 v70, v60, 0x3b9c, v52
	v_fmac_f16_e32 v52, 0xbb9c, v60
	v_fmac_f16_e32 v58, 0x34f2, v57
	;; [unrolled: 1-line block ×3, first 2 shown]
	v_add_f16_e32 v57, v62, v63
	v_add_f16_e32 v60, v61, v69
	v_fmac_f16_e32 v70, 0xb8b4, v56
	v_sub_f16_e32 v61, v91, v62
	v_sub_f16_e32 v69, v45, v63
	v_fmac_f16_e32 v52, 0x38b4, v56
	v_add_f16_e32 v56, v91, v45
	v_fmac_f16_e32 v8, v98, v71
	v_fma_f16 v57, -0.5, v57, v81
	v_sub_f16_e32 v71, v78, v42
	v_add_f16_e32 v61, v61, v69
	v_add_f16_e32 v69, v81, v91
	v_sub_f16_e32 v75, v76, v86
	v_fmac_f16_e32 v81, -0.5, v56
	v_fmamk_f16 v72, v71, 0x3b9c, v57
	v_fmac_f16_e32 v57, 0xbb9c, v71
	v_sub_f16_e32 v56, v62, v91
	v_sub_f16_e32 v77, v63, v45
	v_fmamk_f16 v79, v75, 0xbb9c, v81
	v_fmac_f16_e32 v81, 0x3b9c, v75
	v_add_f16_e32 v69, v69, v62
	v_fmac_f16_e32 v72, 0x38b4, v75
	v_fmac_f16_e32 v57, 0xb8b4, v75
	v_add_f16_e32 v56, v56, v77
	v_fmac_f16_e32 v79, 0x38b4, v71
	v_fmac_f16_e32 v81, 0xb8b4, v71
	;; [unrolled: 1-line block ×4, first 2 shown]
	v_add_f16_e32 v60, v69, v63
	v_fmac_f16_e32 v72, 0x34f2, v61
	v_fmac_f16_e32 v57, 0x34f2, v61
	;; [unrolled: 1-line block ×4, first 2 shown]
	v_add_f16_e32 v56, v60, v45
	v_add_f16_e32 v60, v76, v86
	v_sub_f16_e32 v61, v62, v63
	v_add_f16_e32 v62, v78, v42
	v_add_f16_e32 v63, v85, v78
	v_sub_f16_e32 v45, v91, v45
	v_fma_f16 v60, -0.5, v60, v85
	v_sub_f16_e32 v69, v78, v76
	v_fmac_f16_e32 v85, -0.5, v62
	v_add_f16_e32 v62, v63, v76
	v_sub_f16_e32 v63, v76, v78
	v_sub_f16_e32 v76, v86, v42
	;; [unrolled: 1-line block ×3, first 2 shown]
	v_fmamk_f16 v77, v61, 0x3b9c, v85
	v_fmac_f16_e32 v85, 0xbb9c, v61
	v_fmamk_f16 v75, v45, 0xbb9c, v60
	v_add_f16_e32 v63, v63, v76
	v_fmac_f16_e32 v60, 0x3b9c, v45
	v_add_f16_e32 v47, v47, v90
	v_fmac_f16_e32 v85, 0x38b4, v45
	;; [unrolled: 2-line block ×3, first 2 shown]
	v_fmac_f16_e32 v60, 0x38b4, v61
	v_add_f16_e32 v47, v47, v97
	v_fmac_f16_e32 v85, 0x34f2, v63
	v_add_f16_e32 v62, v62, v86
	v_fmac_f16_e32 v77, 0xb8b4, v45
	v_fmac_f16_e32 v75, 0x34f2, v69
	v_mul_f16_e32 v61, 0xb8b4, v72
	v_fmac_f16_e32 v60, 0x34f2, v69
	v_mul_f16_e32 v71, 0x34f2, v85
	v_add_f16_e32 v47, v47, v102
	v_add_f16_e32 v42, v62, v42
	v_fmac_f16_e32 v77, 0x34f2, v63
	v_mul_f16_e32 v45, 0x38b4, v75
	v_fmac_f16_e32 v61, 0x3a79, v75
	v_mul_f16_e32 v63, 0xbb9c, v79
	v_mul_f16_e32 v75, 0x3a79, v60
	v_fma_f16 v71, v81, 0xbb9c, -v71
	v_mul_f16_e32 v62, 0x3b9c, v77
	v_fmac_f16_e32 v45, 0x3a79, v72
	v_mul_f16_e32 v69, 0x34f2, v81
	v_mul_f16_e32 v72, 0x3a79, v57
	v_fmac_f16_e32 v63, 0x34f2, v77
	v_fma_f16 v57, v57, 0xb8b4, -v75
	v_add_f16_e32 v75, v47, v42
	v_sub_f16_e32 v76, v47, v42
	v_add_f16_e32 v77, v58, v61
	v_sub_f16_e32 v78, v58, v61
	v_add_f16_e32 v42, v68, v74
	v_add_f16_e32 v81, v52, v71
	v_sub_f16_e32 v47, v67, v68
	v_sub_f16_e32 v58, v17, v74
	;; [unrolled: 1-line block ×3, first 2 shown]
	v_add_f16_e32 v52, v67, v17
	v_fmac_f16_e32 v62, 0x34f2, v79
	v_fma_f16 v69, v85, 0x3b9c, -v69
	v_fma_f16 v60, v60, 0x38b4, -v72
	v_add_f16_e32 v79, v70, v63
	v_sub_f16_e32 v70, v70, v63
	v_fma_f16 v42, -0.5, v42, v34
	v_add_f16_e32 v47, v47, v58
	v_add_f16_e32 v58, v34, v67
	v_sub_f16_e32 v63, v65, v66
	v_fmac_f16_e32 v34, -0.5, v52
	v_add_f16_e32 v72, v46, v56
	v_sub_f16_e32 v46, v46, v56
	v_add_f16_e32 v56, v49, v45
	v_sub_f16_e32 v45, v49, v45
	;; [unrolled: 2-line block ×5, first 2 shown]
	v_sub_f16_e32 v60, v64, v73
	v_sub_f16_e32 v52, v68, v67
	;; [unrolled: 1-line block ×3, first 2 shown]
	v_fmamk_f16 v83, v63, 0xbb9c, v34
	v_fmac_f16_e32 v34, 0x3b9c, v63
	v_fmamk_f16 v61, v60, 0x3b9c, v42
	v_fmac_f16_e32 v42, 0xbb9c, v60
	v_add_f16_e32 v52, v52, v82
	v_fmac_f16_e32 v83, 0x38b4, v60
	v_fmac_f16_e32 v34, 0xb8b4, v60
	v_add_f16_e32 v82, v51, v57
	v_sub_f16_e32 v84, v51, v57
	v_sub_f16_e32 v57, v21, v23
	;; [unrolled: 1-line block ×3, first 2 shown]
	v_fmac_f16_e32 v61, 0x38b4, v63
	v_fmac_f16_e32 v42, 0xb8b4, v63
	v_add_f16_e32 v63, v23, v48
	v_sub_f16_e32 v51, v54, v14
	v_add_f16_e32 v57, v57, v60
	v_add_f16_e32 v60, v21, v44
	v_fmac_f16_e32 v61, 0x34f2, v47
	v_fma_f16 v85, -0.5, v63, v3
	v_fmac_f16_e32 v42, 0x34f2, v47
	v_sub_f16_e32 v47, v20, v22
	v_fmac_f16_e32 v83, 0x34f2, v52
	v_fmac_f16_e32 v34, 0x34f2, v52
	v_add_f16_e32 v52, v3, v21
	v_fmac_f16_e32 v3, -0.5, v60
	v_fmamk_f16 v86, v51, 0x3b9c, v85
	v_fmac_f16_e32 v85, 0xbb9c, v51
	v_sub_f16_e32 v60, v23, v21
	v_add_f16_e32 v52, v52, v23
	v_fmamk_f16 v87, v47, 0xbb9c, v3
	v_fmac_f16_e32 v3, 0x3b9c, v47
	v_fmac_f16_e32 v86, 0x38b4, v47
	;; [unrolled: 1-line block ×3, first 2 shown]
	v_add_f16_e32 v47, v52, v48
	v_fmac_f16_e32 v87, 0x38b4, v51
	v_fmac_f16_e32 v3, 0xb8b4, v51
	v_add_f16_e32 v51, v20, v22
	v_sub_f16_e32 v63, v48, v44
	v_add_f16_e32 v47, v47, v44
	v_sub_f16_e32 v21, v21, v44
	v_add_f16_e32 v44, v54, v14
	v_fma_f16 v88, -0.5, v51, v6
	v_fmac_f16_e32 v86, 0x34f2, v57
	v_fmac_f16_e32 v85, 0x34f2, v57
	v_add_f16_e32 v52, v60, v63
	v_sub_f16_e32 v57, v54, v20
	v_sub_f16_e32 v60, v14, v22
	;; [unrolled: 1-line block ×3, first 2 shown]
	v_add_f16_e32 v89, v6, v54
	v_fmamk_f16 v90, v21, 0xbb9c, v88
	v_fmac_f16_e32 v6, -0.5, v44
	v_add_f16_e32 v48, v57, v60
	v_fmac_f16_e32 v88, 0x3b9c, v21
	v_sub_f16_e32 v44, v20, v54
	v_sub_f16_e32 v51, v22, v14
	v_fmac_f16_e32 v90, 0xb8b4, v23
	v_fmamk_f16 v91, v23, 0x3b9c, v6
	v_fmac_f16_e32 v6, 0xbb9c, v23
	v_fmac_f16_e32 v88, 0x38b4, v23
	v_add_f16_e32 v23, v44, v51
	v_add_f16_e32 v44, v58, v68
	v_fmac_f16_e32 v91, 0xb8b4, v21
	v_fmac_f16_e32 v90, 0x34f2, v48
	;; [unrolled: 1-line block ×4, first 2 shown]
	v_add_f16_e32 v21, v44, v74
	v_fmac_f16_e32 v91, 0x34f2, v23
	v_mul_f16_e32 v44, 0x38b4, v90
	v_fmac_f16_e32 v87, 0x34f2, v52
	v_fmac_f16_e32 v88, 0x34f2, v48
	v_add_f16_e32 v21, v21, v17
	v_mul_f16_e32 v48, 0x3b9c, v91
	v_fmac_f16_e32 v6, 0x34f2, v23
	v_fmac_f16_e32 v44, 0x3a79, v86
	v_mul_f16_e32 v23, 0x34f2, v3
	v_add_f16_e32 v52, v10, v12
	v_add_f16_e32 v51, v21, v47
	v_fmac_f16_e32 v48, 0x34f2, v87
	v_sub_f16_e32 v21, v21, v47
	v_add_f16_e32 v47, v61, v44
	v_fma_f16 v23, v6, 0x3b9c, -v23
	v_sub_f16_e32 v44, v61, v44
	v_fma_f16 v52, -0.5, v52, v33
	v_sub_f16_e32 v58, v2, v11
	v_sub_f16_e32 v60, v16, v10
	;; [unrolled: 1-line block ×3, first 2 shown]
	v_add_f16_e32 v63, v16, v13
	v_add_f16_e32 v54, v83, v48
	v_sub_f16_e32 v48, v83, v48
	v_add_f16_e32 v57, v34, v23
	v_sub_f16_e32 v34, v34, v23
	v_fmamk_f16 v23, v58, 0x3b9c, v52
	v_sub_f16_e32 v83, v7, v9
	v_add_f16_e32 v60, v60, v61
	v_add_f16_e32 v61, v33, v16
	v_fmac_f16_e32 v33, -0.5, v63
	v_fmac_f16_e32 v52, 0xbb9c, v58
	v_mul_f16_e32 v92, 0x3a79, v85
	v_fmac_f16_e32 v23, 0x38b4, v83
	v_sub_f16_e32 v63, v10, v16
	v_fmamk_f16 v94, v83, 0xbb9c, v33
	v_fmac_f16_e32 v52, 0xb8b4, v83
	v_fmac_f16_e32 v33, 0x3b9c, v83
	v_fma_f16 v83, v88, 0x38b4, -v92
	v_add_f16_e32 v92, v40, v43
	v_sub_f16_e32 v93, v12, v13
	v_fmac_f16_e32 v94, 0x38b4, v58
	v_fmac_f16_e32 v33, 0xb8b4, v58
	v_add_f16_e32 v58, v42, v83
	v_sub_f16_e32 v42, v42, v83
	v_fma_f16 v83, -0.5, v92, v0
	v_sub_f16_e32 v92, v19, v8
	v_add_f16_e32 v63, v63, v93
	v_fmac_f16_e32 v23, 0x34f2, v60
	v_sub_f16_e32 v93, v18, v40
	v_sub_f16_e32 v95, v41, v43
	v_fmac_f16_e32 v52, 0x34f2, v60
	v_fmamk_f16 v96, v92, 0x3b9c, v83
	v_sub_f16_e32 v60, v4, v5
	v_fmac_f16_e32 v83, 0xbb9c, v92
	v_add_f16_e32 v93, v93, v95
	v_add_f16_e32 v95, v18, v41
	v_fmac_f16_e32 v94, 0x34f2, v63
	v_fmac_f16_e32 v96, 0x38b4, v60
	;; [unrolled: 1-line block ×4, first 2 shown]
	v_add_f16_e32 v63, v0, v18
	v_fmac_f16_e32 v0, -0.5, v95
	v_fmac_f16_e32 v96, 0x34f2, v93
	v_fmac_f16_e32 v83, 0x34f2, v93
	v_add_f16_e32 v93, v4, v5
	v_sub_f16_e32 v95, v40, v18
	v_sub_f16_e32 v97, v43, v41
	v_fmamk_f16 v98, v60, 0xbb9c, v0
	v_fmac_f16_e32 v0, 0x3b9c, v60
	v_add_f16_e32 v60, v63, v40
	v_sub_f16_e32 v18, v18, v41
	v_fma_f16 v93, -0.5, v93, v1
	v_add_f16_e32 v63, v95, v97
	v_fmac_f16_e32 v98, 0x38b4, v92
	v_fmac_f16_e32 v0, 0xb8b4, v92
	v_add_f16_e32 v60, v60, v43
	v_sub_f16_e32 v92, v19, v4
	v_sub_f16_e32 v95, v8, v5
	;; [unrolled: 1-line block ×3, first 2 shown]
	v_add_f16_e32 v43, v19, v8
	v_fmamk_f16 v97, v18, 0xbb9c, v93
	v_add_f16_e32 v41, v60, v41
	v_add_f16_e32 v60, v92, v95
	;; [unrolled: 1-line block ×3, first 2 shown]
	v_fmac_f16_e32 v93, 0x3b9c, v18
	v_fmac_f16_e32 v1, -0.5, v43
	v_fmac_f16_e32 v97, 0xb8b4, v40
	v_sub_f16_e32 v19, v4, v19
	v_sub_f16_e32 v43, v5, v8
	v_fmac_f16_e32 v93, 0x38b4, v40
	v_fmamk_f16 v95, v40, 0x3b9c, v1
	v_fmac_f16_e32 v1, 0xbb9c, v40
	v_add_f16_e32 v40, v61, v10
	v_fmac_f16_e32 v97, 0x34f2, v60
	v_add_f16_e32 v19, v19, v43
	v_fmac_f16_e32 v95, 0xb8b4, v18
	v_fmac_f16_e32 v1, 0x38b4, v18
	v_add_f16_e32 v18, v40, v12
	v_mul_f16_e32 v40, 0x38b4, v97
	v_mov_b32_e32 v61, 0xc8
	v_fmac_f16_e32 v0, 0x34f2, v63
	v_fmac_f16_e32 v95, 0x34f2, v19
	v_add_f16_e32 v18, v18, v13
	v_fmac_f16_e32 v40, 0x3a79, v96
	v_mul_u32_u24_sdwa v36, v36, v61 dst_sel:DWORD dst_unused:UNUSED_PAD src0_sel:WORD_0 src1_sel:DWORD
	v_mul_u32_u24_sdwa v38, v38, v61 dst_sel:DWORD dst_unused:UNUSED_PAD src0_sel:WORD_0 src1_sel:DWORD
	v_fmac_f16_e32 v98, 0x34f2, v63
	v_add_f16_e32 v43, v18, v41
	v_sub_f16_e32 v18, v18, v41
	v_add_f16_e32 v41, v23, v40
	v_sub_f16_e32 v40, v23, v40
	v_mov_b32_e32 v23, 1
	v_fmac_f16_e32 v93, 0x34f2, v60
	v_fmac_f16_e32 v1, 0x34f2, v19
	v_mul_f16_e32 v19, 0x3b9c, v95
	v_mul_f16_e32 v60, 0x34f2, v0
	v_lshlrev_b32_sdwa v37, v23, v37 dst_sel:DWORD dst_unused:UNUSED_PAD src0_sel:DWORD src1_sel:BYTE_0
	v_lshlrev_b32_sdwa v39, v23, v39 dst_sel:DWORD dst_unused:UNUSED_PAD src0_sel:DWORD src1_sel:BYTE_0
	v_mul_f16_e32 v63, 0x3a79, v83
	s_waitcnt lgkmcnt(0)
	s_barrier
	v_add3_u32 v100, 0, v36, v37
	buffer_gl0_inv
	ds_write_b16 v100, v72
	ds_write_b16 v100, v56 offset:20
	ds_write_b16 v100, v49 offset:40
	;; [unrolled: 1-line block ×5, first 2 shown]
	v_add3_u32 v69, 0, v38, v39
	v_fmac_f16_e32 v19, 0x34f2, v98
	v_fma_f16 v60, v1, 0x3b9c, -v60
	v_fma_f16 v63, v93, 0x38b4, -v63
	ds_write_b16 v100, v45 offset:120
	ds_write_b16 v100, v59 offset:140
	;; [unrolled: 1-line block ×4, first 2 shown]
	ds_write_b16 v69, v51
	ds_write_b16 v69, v47 offset:20
	v_mul_u32_u24_e32 v35, 0xc8, v53
	v_lshlrev_b32_sdwa v38, v23, v55 dst_sel:DWORD dst_unused:UNUSED_PAD src0_sel:DWORD src1_sel:WORD_0
	v_add_f16_e32 v99, v94, v19
	v_sub_f16_e32 v19, v94, v19
	v_add_f16_e32 v94, v33, v60
	v_sub_f16_e32 v33, v33, v60
	;; [unrolled: 2-line block ×3, first 2 shown]
	v_add3_u32 v72, 0, v35, v38
	ds_write_b16 v69, v54 offset:40
	ds_write_b16 v69, v57 offset:60
	;; [unrolled: 1-line block ×8, first 2 shown]
	ds_write_b16 v72, v43
	ds_write_b16 v72, v41 offset:20
	ds_write_b16 v72, v99 offset:40
	;; [unrolled: 1-line block ×9, first 2 shown]
	s_waitcnt lgkmcnt(0)
	s_barrier
	buffer_gl0_inv
	ds_read_u16 v37, v29
	ds_read_u16 v36, v29 offset:240
	ds_read_u16 v35, v29 offset:480
	;; [unrolled: 1-line block ×15, first 2 shown]
	v_lshl_add_u32 v21, v28, 1, 0
	ds_read_u16 v57, v29 offset:3840
	ds_read_u16 v61, v29 offset:3600
	ds_read_u16 v45, v29 offset:3360
	ds_read_u16 v58, v29 offset:2640
	ds_read_u16 v63, v29 offset:2400
	ds_read_u16 v49, v29 offset:2160
	ds_read_u16 v55, v29 offset:5280
	ds_read_u16 v52, v29 offset:5520
	ds_read_u16 v43, v29 offset:5760
	ds_read_u16 v59, v29 offset:5040
	ds_read_u16 v62, v29 offset:4800
	ds_read_u16 v44, v29 offset:4560
	ds_read_u16 v33, v21 offset:960
	ds_read_u16 v42, v29 offset:6960
	s_waitcnt lgkmcnt(0)
	s_barrier
	buffer_gl0_inv
	ds_write_b16 v100, v75
	ds_write_b16 v100, v77 offset:20
	ds_write_b16 v100, v79 offset:40
	;; [unrolled: 1-line block ×7, first 2 shown]
	v_add_f16_e32 v18, v15, v64
	v_sub_f16_e32 v17, v67, v17
	v_sub_f16_e32 v19, v64, v65
	;; [unrolled: 1-line block ×3, first 2 shown]
	v_add_f16_e32 v67, v65, v66
	v_add_f16_e32 v70, v64, v73
	;; [unrolled: 1-line block ×3, first 2 shown]
	v_sub_f16_e32 v68, v68, v74
	v_add_f16_e32 v19, v19, v53
	v_fma_f16 v53, -0.5, v67, v15
	v_fmac_f16_e32 v15, -0.5, v70
	v_add_f16_e32 v18, v18, v66
	v_sub_f16_e32 v64, v65, v64
	v_sub_f16_e32 v65, v66, v73
	v_fmamk_f16 v66, v17, 0xbb9c, v53
	v_fmac_f16_e32 v53, 0x3b9c, v17
	v_fmamk_f16 v67, v68, 0x3b9c, v15
	v_fmac_f16_e32 v15, 0xbb9c, v68
	v_add_f16_e32 v20, v89, v20
	v_fmac_f16_e32 v66, 0xb8b4, v68
	v_fmac_f16_e32 v53, 0x38b4, v68
	v_add_f16_e32 v64, v64, v65
	v_fmac_f16_e32 v15, 0x38b4, v17
	v_mul_f16_e32 v6, 0x34f2, v6
	v_fmac_f16_e32 v67, 0xb8b4, v17
	v_add_f16_e32 v17, v20, v22
	v_fmac_f16_e32 v66, 0x34f2, v19
	v_fmac_f16_e32 v53, 0x34f2, v19
	;; [unrolled: 1-line block ×3, first 2 shown]
	v_mul_f16_e32 v19, 0xb8b4, v86
	v_mul_f16_e32 v20, 0xbb9c, v87
	;; [unrolled: 1-line block ×3, first 2 shown]
	v_fma_f16 v3, v3, 0xbb9c, -v6
	v_add_f16_e32 v18, v18, v73
	v_fmac_f16_e32 v67, 0x34f2, v64
	v_add_f16_e32 v14, v17, v14
	v_fmac_f16_e32 v19, 0x3a79, v90
	v_fmac_f16_e32 v20, 0x34f2, v91
	v_fma_f16 v6, v85, 0xb8b4, -v22
	v_add_f16_e32 v64, v15, v3
	v_sub_f16_e32 v3, v15, v3
	v_add_f16_e32 v15, v80, v2
	v_add_f16_e32 v17, v18, v14
	v_sub_f16_e32 v14, v18, v14
	v_add_f16_e32 v18, v66, v19
	v_sub_f16_e32 v19, v66, v19
	;; [unrolled: 2-line block ×4, first 2 shown]
	v_sub_f16_e32 v13, v16, v13
	v_sub_f16_e32 v16, v2, v7
	v_add_f16_e32 v15, v15, v7
	v_sub_f16_e32 v53, v11, v9
	v_add_f16_e32 v66, v7, v9
	v_add_f16_e32 v67, v2, v11
	v_sub_f16_e32 v10, v10, v12
	v_add_f16_e32 v12, v15, v9
	v_add_f16_e32 v15, v16, v53
	v_fma_f16 v16, -0.5, v66, v80
	v_fmac_f16_e32 v80, -0.5, v67
	v_sub_f16_e32 v2, v7, v2
	v_add_f16_e32 v7, v12, v11
	v_sub_f16_e32 v9, v9, v11
	v_fmamk_f16 v11, v13, 0xbb9c, v16
	v_fmamk_f16 v12, v10, 0x3b9c, v80
	v_fmac_f16_e32 v80, 0xbb9c, v10
	v_fmac_f16_e32 v16, 0x3b9c, v13
	v_add_f16_e32 v4, v92, v4
	v_add_f16_e32 v2, v2, v9
	v_fmac_f16_e32 v12, 0xb8b4, v13
	v_fmac_f16_e32 v80, 0x38b4, v13
	;; [unrolled: 1-line block ×4, first 2 shown]
	v_add_f16_e32 v4, v4, v5
	v_fmac_f16_e32 v12, 0x34f2, v2
	v_fmac_f16_e32 v80, 0x34f2, v2
	v_mul_f16_e32 v2, 0xb8b4, v96
	v_mul_f16_e32 v5, 0xbb9c, v98
	;; [unrolled: 1-line block ×4, first 2 shown]
	v_fmac_f16_e32 v11, 0x34f2, v15
	v_fmac_f16_e32 v16, 0x34f2, v15
	v_add_f16_e32 v4, v4, v8
	v_fmac_f16_e32 v2, 0x3a79, v97
	v_fmac_f16_e32 v5, 0x34f2, v95
	v_fma_f16 v0, v0, 0xbb9c, -v1
	v_fma_f16 v1, v83, 0xb8b4, -v9
	v_add_f16_e32 v8, v7, v4
	v_sub_f16_e32 v4, v7, v4
	v_add_f16_e32 v7, v11, v2
	v_sub_f16_e32 v2, v11, v2
	;; [unrolled: 2-line block ×5, first 2 shown]
	v_add_nc_u32_e32 v1, 0xffffff9c, v28
	ds_write_b16 v100, v71 offset:160
	ds_write_b16 v100, v84 offset:180
	ds_write_b16 v69, v17
	ds_write_b16 v69, v18 offset:20
	ds_write_b16 v69, v22 offset:40
	ds_write_b16 v69, v64 offset:60
	ds_write_b16 v69, v65 offset:80
	ds_write_b16 v69, v14 offset:100
	ds_write_b16 v69, v19 offset:120
	ds_write_b16 v69, v20 offset:140
	ds_write_b16 v69, v3 offset:160
	ds_write_b16 v69, v6 offset:180
	ds_write_b16 v72, v8
	v_mul_lo_u16 v3, v32, 41
	v_cndmask_b32_e64 v53, v1, v28, s0
	v_mov_b32_e32 v20, 0
	ds_write_b16 v72, v7 offset:20
	ds_write_b16 v72, v9 offset:40
	;; [unrolled: 1-line block ×8, first 2 shown]
	v_lshrrev_b16 v32, 12, v3
	v_mul_i32_i24_e32 v19, 5, v53
	v_lshrrev_b16 v5, 2, v31
	v_mov_b32_e32 v8, 0x147b
	v_add_nc_u16 v9, v28, 0x168
	v_mul_lo_u16 v4, 0x64, v32
	v_lshlrev_b64 v[0:1], 2, v[19:20]
	ds_write_b16 v72, v12 offset:180
	s_waitcnt lgkmcnt(0)
	s_barrier
	v_sub_nc_u16 v64, v30, v4
	v_mul_u32_u24_sdwa v4, v5, v8 dst_sel:DWORD dst_unused:UNUSED_PAD src0_sel:WORD_0 src1_sel:DWORD
	v_add_co_u32 v69, s0, s12, v0
	v_add_co_ci_u32_e64 v70, s0, s13, v1, s0
	v_lshrrev_b32_e32 v30, 17, v4
	buffer_gl0_inv
	v_mov_b32_e32 v16, 5
	global_load_dwordx4 v[0:3], v[69:70], off offset:360
	v_lshrrev_b16 v11, 2, v9
	v_mul_lo_u16 v10, 0x64, v30
	v_add_nc_u32_e32 v22, 0x1e0, v28
	v_mul_u32_u24_sdwa v5, v64, v16 dst_sel:DWORD dst_unused:UNUSED_PAD src0_sel:BYTE_0 src1_sel:DWORD
	v_cmp_lt_u32_e64 s0, 0x63, v28
	v_lshlrev_b32_e32 v53, 1, v53
	v_sub_nc_u16 v65, v31, v10
	v_mul_u32_u24_sdwa v10, v11, v8 dst_sel:DWORD dst_unused:UNUSED_PAD src0_sel:WORD_0 src1_sel:DWORD
	v_lshlrev_b32_e32 v71, 2, v5
	v_mul_u32_u24_sdwa v11, v65, v16 dst_sel:DWORD dst_unused:UNUSED_PAD src0_sel:WORD_0 src1_sel:DWORD
	v_lshrrev_b32_e32 v31, 17, v10
	global_load_dwordx4 v[4:7], v71, s[12:13] offset:360
	v_lshlrev_b32_e32 v74, 2, v11
	v_mul_lo_u16 v10, 0x64, v31
	v_lshrrev_b16 v11, 2, v22
	global_load_dwordx4 v[12:15], v74, s[12:13] offset:360
	v_sub_nc_u16 v68, v9, v10
	v_mul_u32_u24_sdwa v8, v11, v8 dst_sel:DWORD dst_unused:UNUSED_PAD src0_sel:WORD_0 src1_sel:DWORD
	v_mul_u32_u24_sdwa v9, v68, v16 dst_sel:DWORD dst_unused:UNUSED_PAD src0_sel:WORD_0 src1_sel:DWORD
	v_lshrrev_b32_e32 v66, 17, v8
	v_lshlrev_b32_e32 v75, 2, v9
	v_mul_lo_u16 v17, 0x64, v66
	global_load_dwordx4 v[8:11], v75, s[12:13] offset:360
	v_sub_nc_u16 v67, v22, v17
	v_mul_u32_u24_sdwa v16, v67, v16 dst_sel:DWORD dst_unused:UNUSED_PAD src0_sel:WORD_0 src1_sel:DWORD
	v_lshlrev_b32_e32 v76, 2, v16
	s_clause 0x5
	global_load_dwordx4 v[16:19], v76, s[12:13] offset:360
	global_load_dword v73, v[69:70], off offset:376
	global_load_dword v72, v71, s[12:13] offset:376
	global_load_dword v71, v74, s[12:13] offset:376
	;; [unrolled: 1-line block ×4, first 2 shown]
	ds_read_u16 v81, v29 offset:1200
	ds_read_u16 v80, v29 offset:2400
	;; [unrolled: 1-line block ×14, first 2 shown]
	s_waitcnt vmcnt(9) lgkmcnt(13)
	v_mul_f16_sdwa v83, v81, v0 dst_sel:DWORD dst_unused:UNUSED_PAD src0_sel:DWORD src1_sel:WORD_1
	v_mul_f16_sdwa v84, v60, v0 dst_sel:DWORD dst_unused:UNUSED_PAD src0_sel:DWORD src1_sel:WORD_1
	s_waitcnt lgkmcnt(12)
	v_mul_f16_sdwa v90, v80, v1 dst_sel:DWORD dst_unused:UNUSED_PAD src0_sel:DWORD src1_sel:WORD_1
	v_mul_f16_sdwa v91, v63, v1 dst_sel:DWORD dst_unused:UNUSED_PAD src0_sel:DWORD src1_sel:WORD_1
	s_waitcnt lgkmcnt(10)
	v_mul_f16_sdwa v95, v78, v3 dst_sel:DWORD dst_unused:UNUSED_PAD src0_sel:DWORD src1_sel:WORD_1
	v_fma_f16 v60, v60, v0, -v83
	v_fmac_f16_e32 v84, v81, v0
	v_fma_f16 v0, v63, v1, -v90
	v_fmac_f16_e32 v91, v80, v1
	ds_read_u16 v80, v29 offset:4080
	ds_read_u16 v81, v29 offset:4320
	;; [unrolled: 1-line block ×7, first 2 shown]
	v_mul_f16_sdwa v63, v79, v2 dst_sel:DWORD dst_unused:UNUSED_PAD src0_sel:DWORD src1_sel:WORD_1
	v_mul_f16_sdwa v1, v61, v2 dst_sel:DWORD dst_unused:UNUSED_PAD src0_sel:DWORD src1_sel:WORD_1
	v_fma_f16 v61, v61, v2, -v63
	v_mul_f16_sdwa v63, v62, v3 dst_sel:DWORD dst_unused:UNUSED_PAD src0_sel:DWORD src1_sel:WORD_1
	v_fmac_f16_e32 v1, v79, v2
	s_waitcnt vmcnt(8) lgkmcnt(15)
	v_mul_f16_sdwa v2, v77, v4 dst_sel:DWORD dst_unused:UNUSED_PAD src0_sel:DWORD src1_sel:WORD_1
	v_mul_f16_sdwa v79, v56, v4 dst_sel:DWORD dst_unused:UNUSED_PAD src0_sel:DWORD src1_sel:WORD_1
	v_fma_f16 v62, v62, v3, -v95
	v_fmac_f16_e32 v63, v78, v3
	s_waitcnt lgkmcnt(11)
	v_mul_f16_sdwa v3, v85, v5 dst_sel:DWORD dst_unused:UNUSED_PAD src0_sel:DWORD src1_sel:WORD_1
	v_fma_f16 v56, v56, v4, -v2
	v_fmac_f16_e32 v79, v77, v4
	v_mul_f16_sdwa v2, v76, v6 dst_sel:DWORD dst_unused:UNUSED_PAD src0_sel:DWORD src1_sel:WORD_1
	s_waitcnt lgkmcnt(4)
	v_mul_f16_sdwa v4, v83, v7 dst_sel:DWORD dst_unused:UNUSED_PAD src0_sel:DWORD src1_sel:WORD_1
	v_mul_f16_sdwa v78, v58, v5 dst_sel:DWORD dst_unused:UNUSED_PAD src0_sel:DWORD src1_sel:WORD_1
	v_fma_f16 v58, v58, v5, -v3
	v_mul_f16_sdwa v3, v57, v6 dst_sel:DWORD dst_unused:UNUSED_PAD src0_sel:DWORD src1_sel:WORD_1
	v_fma_f16 v2, v57, v6, -v2
	;; [unrolled: 2-line block ×3, first 2 shown]
	s_waitcnt vmcnt(7)
	v_mul_f16_sdwa v4, v86, v13 dst_sel:DWORD dst_unused:UNUSED_PAD src0_sel:DWORD src1_sel:WORD_1
	v_fmac_f16_e32 v78, v85, v5
	v_fmac_f16_e32 v3, v76, v6
	v_mul_f16_sdwa v5, v75, v12 dst_sel:DWORD dst_unused:UNUSED_PAD src0_sel:DWORD src1_sel:WORD_1
	v_mul_f16_sdwa v76, v50, v12 dst_sel:DWORD dst_unused:UNUSED_PAD src0_sel:DWORD src1_sel:WORD_1
	;; [unrolled: 1-line block ×3, first 2 shown]
	v_fma_f16 v54, v54, v13, -v4
	v_mul_f16_sdwa v4, v80, v14 dst_sel:DWORD dst_unused:UNUSED_PAD src0_sel:DWORD src1_sel:WORD_1
	s_waitcnt lgkmcnt(3)
	v_mul_f16_sdwa v6, v90, v15 dst_sel:DWORD dst_unused:UNUSED_PAD src0_sel:DWORD src1_sel:WORD_1
	v_fma_f16 v50, v50, v12, -v5
	v_fmac_f16_e32 v76, v75, v12
	v_mul_f16_sdwa v5, v51, v14 dst_sel:DWORD dst_unused:UNUSED_PAD src0_sel:DWORD src1_sel:WORD_1
	v_mul_f16_sdwa v75, v55, v15 dst_sel:DWORD dst_unused:UNUSED_PAD src0_sel:DWORD src1_sel:WORD_1
	v_fma_f16 v4, v51, v14, -v4
	v_fma_f16 v51, v55, v15, -v6
	s_waitcnt vmcnt(6)
	v_mul_f16_sdwa v6, v74, v8 dst_sel:DWORD dst_unused:UNUSED_PAD src0_sel:DWORD src1_sel:WORD_1
	v_mul_f16_sdwa v55, v46, v8 dst_sel:DWORD dst_unused:UNUSED_PAD src0_sel:DWORD src1_sel:WORD_1
	v_fmac_f16_e32 v57, v83, v7
	v_fmac_f16_e32 v5, v80, v14
	v_mul_f16_sdwa v7, v87, v9 dst_sel:DWORD dst_unused:UNUSED_PAD src0_sel:DWORD src1_sel:WORD_1
	v_mul_f16_sdwa v80, v48, v9 dst_sel:DWORD dst_unused:UNUSED_PAD src0_sel:DWORD src1_sel:WORD_1
	v_fma_f16 v46, v46, v8, -v6
	v_fmac_f16_e32 v55, v74, v8
	v_mul_f16_sdwa v6, v81, v10 dst_sel:DWORD dst_unused:UNUSED_PAD src0_sel:DWORD src1_sel:WORD_1
	s_waitcnt lgkmcnt(2)
	v_mul_f16_sdwa v8, v92, v11 dst_sel:DWORD dst_unused:UNUSED_PAD src0_sel:DWORD src1_sel:WORD_1
	v_fma_f16 v48, v48, v9, -v7
	v_mul_f16_sdwa v7, v47, v10 dst_sel:DWORD dst_unused:UNUSED_PAD src0_sel:DWORD src1_sel:WORD_1
	v_fmac_f16_e32 v80, v87, v9
	v_mul_f16_sdwa v74, v52, v11 dst_sel:DWORD dst_unused:UNUSED_PAD src0_sel:DWORD src1_sel:WORD_1
	v_fma_f16 v6, v47, v10, -v6
	ds_read_u16 v9, v29 offset:6000
	v_fma_f16 v47, v52, v11, -v8
	s_waitcnt vmcnt(5)
	v_mul_f16_sdwa v8, v89, v16 dst_sel:DWORD dst_unused:UNUSED_PAD src0_sel:DWORD src1_sel:WORD_1
	v_fmac_f16_e32 v74, v92, v11
	ds_read_u16 v11, v29 offset:6240
	v_mul_f16_sdwa v52, v49, v16 dst_sel:DWORD dst_unused:UNUSED_PAD src0_sel:DWORD src1_sel:WORD_1
	v_fmac_f16_e32 v77, v86, v13
	v_fma_f16 v49, v49, v16, -v8
	ds_read_u16 v8, v29 offset:6480
	ds_read_u16 v14, v29 offset:6720
	s_waitcnt lgkmcnt(5)
	v_mul_f16_sdwa v13, v93, v19 dst_sel:DWORD dst_unused:UNUSED_PAD src0_sel:DWORD src1_sel:WORD_1
	v_fmac_f16_e32 v7, v81, v10
	v_mul_f16_sdwa v10, v88, v17 dst_sel:DWORD dst_unused:UNUSED_PAD src0_sel:DWORD src1_sel:WORD_1
	v_mul_f16_sdwa v83, v43, v19 dst_sel:DWORD dst_unused:UNUSED_PAD src0_sel:DWORD src1_sel:WORD_1
	v_fmac_f16_e32 v75, v90, v15
	v_fma_f16 v43, v43, v19, -v13
	s_waitcnt vmcnt(4)
	v_mul_f16_sdwa v13, v41, v73 dst_sel:DWORD dst_unused:UNUSED_PAD src0_sel:DWORD src1_sel:WORD_1
	ds_read_u16 v15, v29 offset:6960
	ds_read_u16 v85, v21 offset:960
	v_mul_f16_sdwa v81, v45, v17 dst_sel:DWORD dst_unused:UNUSED_PAD src0_sel:DWORD src1_sel:WORD_1
	v_fmac_f16_e32 v52, v89, v16
	v_fma_f16 v45, v45, v17, -v10
	s_waitcnt lgkmcnt(6)
	v_mul_f16_sdwa v10, v94, v18 dst_sel:DWORD dst_unused:UNUSED_PAD src0_sel:DWORD src1_sel:WORD_1
	v_mul_f16_sdwa v12, v44, v18 dst_sel:DWORD dst_unused:UNUSED_PAD src0_sel:DWORD src1_sel:WORD_1
	s_waitcnt lgkmcnt(5)
	v_mul_f16_sdwa v16, v9, v73 dst_sel:DWORD dst_unused:UNUSED_PAD src0_sel:DWORD src1_sel:WORD_1
	v_fmac_f16_e32 v13, v9, v73
	ds_read_u16 v9, v29
	v_fmac_f16_e32 v81, v88, v17
	v_fma_f16 v10, v44, v18, -v10
	v_fmac_f16_e32 v12, v94, v18
	v_fmac_f16_e32 v83, v93, v19
	s_waitcnt vmcnt(3) lgkmcnt(5)
	v_mul_f16_sdwa v17, v11, v72 dst_sel:DWORD dst_unused:UNUSED_PAD src0_sel:DWORD src1_sel:WORD_1
	v_mul_f16_sdwa v19, v40, v72 dst_sel:DWORD dst_unused:UNUSED_PAD src0_sel:DWORD src1_sel:WORD_1
	s_waitcnt vmcnt(2) lgkmcnt(4)
	v_mul_f16_sdwa v18, v8, v71 dst_sel:DWORD dst_unused:UNUSED_PAD src0_sel:DWORD src1_sel:WORD_1
	v_fma_f16 v16, v41, v73, -v16
	s_waitcnt vmcnt(1)
	v_mul_f16_sdwa v41, v38, v70 dst_sel:DWORD dst_unused:UNUSED_PAD src0_sel:DWORD src1_sel:WORD_1
	v_fma_f16 v17, v40, v72, -v17
	v_mul_f16_sdwa v40, v39, v71 dst_sel:DWORD dst_unused:UNUSED_PAD src0_sel:DWORD src1_sel:WORD_1
	v_fmac_f16_e32 v19, v11, v72
	v_fma_f16 v11, v39, v71, -v18
	s_waitcnt lgkmcnt(3)
	v_mul_f16_sdwa v18, v14, v70 dst_sel:DWORD dst_unused:UNUSED_PAD src0_sel:DWORD src1_sel:WORD_1
	s_waitcnt vmcnt(0)
	v_mul_f16_sdwa v44, v42, v69 dst_sel:DWORD dst_unused:UNUSED_PAD src0_sel:DWORD src1_sel:WORD_1
	v_fmac_f16_e32 v40, v8, v71
	s_waitcnt lgkmcnt(2)
	v_mul_f16_sdwa v8, v15, v69 dst_sel:DWORD dst_unused:UNUSED_PAD src0_sel:DWORD src1_sel:WORD_1
	v_fmac_f16_e32 v41, v14, v70
	v_fma_f16 v18, v38, v70, -v18
	v_add_f16_e32 v14, v0, v62
	v_fmac_f16_e32 v44, v15, v69
	v_add_f16_e32 v15, v91, v63
	v_add_f16_e32 v38, v37, v0
	v_sub_f16_e32 v39, v91, v63
	v_fmac_f16_e32 v37, -0.5, v14
	s_waitcnt lgkmcnt(0)
	v_add_f16_e32 v14, v9, v91
	v_fmac_f16_e32 v9, -0.5, v15
	v_add_f16_e32 v15, v38, v62
	v_add_f16_e32 v38, v61, v16
	;; [unrolled: 1-line block ×3, first 2 shown]
	v_sub_f16_e32 v0, v0, v62
	v_fmamk_f16 v62, v39, 0x3aee, v37
	v_fmac_f16_e32 v37, 0xbaee, v39
	v_add_f16_e32 v39, v60, v61
	v_fmac_f16_e32 v60, -0.5, v38
	v_add_f16_e32 v38, v84, v1
	v_fmac_f16_e32 v84, -0.5, v70
	v_sub_f16_e32 v61, v61, v16
	v_sub_f16_e32 v1, v1, v13
	v_add_f16_e32 v14, v14, v63
	v_fmamk_f16 v63, v0, 0xbaee, v9
	v_fmac_f16_e32 v9, 0x3aee, v0
	v_fmamk_f16 v0, v61, 0xbaee, v84
	v_fmamk_f16 v70, v1, 0x3aee, v60
	v_fmac_f16_e32 v60, 0xbaee, v1
	v_fmac_f16_e32 v84, 0x3aee, v61
	v_add_f16_e32 v1, v39, v16
	v_mul_f16_e32 v16, 0x3aee, v0
	v_mul_f16_e32 v39, 0xbaee, v70
	v_mul_f16_e32 v61, -0.5, v60
	v_mul_f16_e32 v71, -0.5, v84
	v_add_f16_e32 v13, v38, v13
	v_fmac_f16_e32 v16, 0.5, v70
	v_fmac_f16_e32 v39, 0.5, v0
	v_fmac_f16_e32 v61, 0x3aee, v84
	v_fmac_f16_e32 v71, 0xbaee, v60
	v_add_f16_e32 v60, v14, v13
	v_add_f16_e32 v0, v15, v1
	v_sub_f16_e32 v1, v15, v1
	v_add_f16_e32 v38, v37, v61
	v_sub_f16_e32 v37, v37, v61
	v_sub_f16_e32 v61, v14, v13
	v_add_f16_e32 v70, v9, v71
	v_sub_f16_e32 v71, v9, v71
	v_add_f16_e32 v9, v3, v19
	v_add_f16_e32 v14, v2, v17
	;; [unrolled: 1-line block ×3, first 2 shown]
	v_sub_f16_e32 v16, v62, v16
	v_add_f16_e32 v62, v63, v39
	v_sub_f16_e32 v63, v63, v39
	v_add_f16_e32 v39, v56, v2
	v_add_f16_e32 v72, v79, v3
	v_fmac_f16_e32 v79, -0.5, v9
	v_sub_f16_e32 v2, v2, v17
	v_fmac_f16_e32 v56, -0.5, v14
	v_sub_f16_e32 v3, v3, v19
	v_add_f16_e32 v13, v58, v59
	v_add_f16_e32 v9, v36, v58
	v_fmamk_f16 v73, v2, 0xbaee, v79
	v_fmac_f16_e32 v79, 0x3aee, v2
	v_fmamk_f16 v84, v3, 0x3aee, v56
	v_fmac_f16_e32 v56, 0xbaee, v3
	v_fmac_f16_e32 v36, -0.5, v13
	v_sub_f16_e32 v13, v78, v57
	v_add_f16_e32 v3, v39, v17
	v_mul_f16_e32 v14, 0x3aee, v73
	v_add_f16_e32 v2, v9, v59
	v_mul_f16_e32 v9, -0.5, v56
	v_add_f16_e32 v39, v54, v51
	v_add_f16_e32 v87, v4, v11
	v_fmamk_f16 v17, v13, 0x3aee, v36
	v_fmac_f16_e32 v14, 0.5, v84
	v_fmac_f16_e32 v36, 0xbaee, v13
	v_fmac_f16_e32 v9, 0x3aee, v79
	v_add_f16_e32 v86, v35, v54
	v_fmac_f16_e32 v35, -0.5, v39
	v_add_f16_e32 v39, v5, v40
	v_sub_f16_e32 v88, v77, v75
	v_add_f16_e32 v89, v50, v4
	v_fmac_f16_e32 v50, -0.5, v87
	v_add_f16_e32 v87, v76, v5
	v_sub_f16_e32 v5, v5, v40
	v_add_f16_e32 v13, v2, v3
	v_sub_f16_e32 v2, v2, v3
	;; [unrolled: 2-line block ×4, first 2 shown]
	v_sub_f16_e32 v9, v36, v9
	v_fmamk_f16 v36, v88, 0x3aee, v35
	v_add_f16_e32 v11, v89, v11
	v_fmamk_f16 v89, v5, 0x3aee, v50
	v_fmac_f16_e32 v50, 0xbaee, v5
	v_add_f16_e32 v5, v86, v51
	v_fmac_f16_e32 v35, 0xbaee, v88
	v_add_f16_e32 v88, v48, v47
	v_fmac_f16_e32 v76, -0.5, v39
	v_add_f16_e32 v93, v6, v18
	v_add_f16_e32 v86, v5, v11
	v_sub_f16_e32 v5, v5, v11
	v_add_f16_e32 v11, v34, v48
	v_fmac_f16_e32 v34, -0.5, v88
	v_add_f16_e32 v88, v7, v41
	v_fmamk_f16 v90, v4, 0xbaee, v76
	v_add_f16_e32 v94, v55, v7
	v_fmac_f16_e32 v76, 0x3aee, v4
	v_mul_f16_e32 v39, -0.5, v50
	v_fmac_f16_e32 v55, -0.5, v88
	v_sub_f16_e32 v88, v6, v18
	v_mul_f16_e32 v4, 0x3aee, v90
	v_add_f16_e32 v6, v46, v6
	v_fmac_f16_e32 v46, -0.5, v93
	v_sub_f16_e32 v7, v7, v41
	v_fmamk_f16 v93, v88, 0xbaee, v55
	v_fmac_f16_e32 v4, 0.5, v89
	v_fmac_f16_e32 v39, 0x3aee, v76
	v_sub_f16_e32 v91, v80, v74
	v_fmamk_f16 v95, v7, 0x3aee, v46
	v_mul_f16_e32 v96, 0x3aee, v93
	v_fma_f16 v8, v42, v69, -v8
	v_add_f16_e32 v92, v36, v4
	v_sub_f16_e32 v4, v36, v4
	v_add_f16_e32 v36, v35, v39
	v_sub_f16_e32 v35, v35, v39
	v_fmamk_f16 v39, v91, 0x3aee, v34
	v_add_f16_e32 v6, v6, v18
	v_add_f16_e32 v11, v11, v47
	v_fmac_f16_e32 v96, 0.5, v95
	v_fmac_f16_e32 v55, 0x3aee, v88
	v_add_f16_e32 v88, v45, v43
	v_fmac_f16_e32 v34, 0xbaee, v91
	v_add_f16_e32 v91, v12, v44
	v_fmac_f16_e32 v46, 0xbaee, v7
	v_add_f16_e32 v7, v11, v6
	v_sub_f16_e32 v6, v11, v6
	v_add_f16_e32 v11, v39, v96
	v_sub_f16_e32 v39, v39, v96
	v_add_f16_e32 v96, v33, v45
	v_fmac_f16_e32 v33, -0.5, v88
	v_add_f16_e32 v88, v10, v8
	v_add_f16_e32 v97, v52, v12
	v_fmac_f16_e32 v52, -0.5, v91
	v_sub_f16_e32 v91, v10, v8
	v_add_f16_e32 v10, v49, v10
	v_fmac_f16_e32 v49, -0.5, v88
	v_sub_f16_e32 v12, v12, v44
	v_mul_f16_e32 v18, -0.5, v46
	v_fmamk_f16 v88, v91, 0xbaee, v52
	v_add_f16_e32 v8, v10, v8
	v_add_f16_e32 v10, v96, v43
	v_cndmask_b32_e64 v96, 0, 0x4b0, s0
	v_fmamk_f16 v100, v12, 0x3aee, v49
	v_fmac_f16_e32 v49, 0xbaee, v12
	v_fmac_f16_e32 v18, 0x3aee, v55
	v_sub_f16_e32 v98, v81, v83
	v_add3_u32 v53, 0, v96, v53
	v_mul_f16_e32 v101, 0x3aee, v88
	v_fmac_f16_e32 v52, 0x3aee, v91
	v_mul_f16_e32 v12, -0.5, v49
	ds_read_u16 v42, v29 offset:240
	ds_read_u16 v69, v29 offset:480
	s_waitcnt lgkmcnt(0)
	s_barrier
	buffer_gl0_inv
	ds_write_b16 v53, v0
	ds_write_b16 v53, v15 offset:200
	ds_write_b16 v53, v38 offset:400
	;; [unrolled: 1-line block ×3, first 2 shown]
	v_mul_u32_u24_e32 v0, 0x4b0, v30
	v_lshlrev_b32_sdwa v1, v23, v65 dst_sel:DWORD dst_unused:UNUSED_PAD src0_sel:DWORD src1_sel:WORD_0
	v_add_f16_e32 v99, v34, v18
	v_sub_f16_e32 v18, v34, v18
	v_fmamk_f16 v34, v98, 0x3aee, v33
	v_fmac_f16_e32 v101, 0.5, v100
	v_fmac_f16_e32 v33, 0xbaee, v98
	v_fmac_f16_e32 v12, 0x3aee, v52
	v_mov_b32_e32 v98, 0x4b0
	v_add3_u32 v65, 0, v0, v1
	v_mul_u32_u24_e32 v0, 0x4b0, v31
	v_lshlrev_b32_sdwa v1, v23, v68 dst_sel:DWORD dst_unused:UNUSED_PAD src0_sel:DWORD src1_sel:WORD_0
	v_add_f16_e32 v91, v10, v8
	v_sub_f16_e32 v8, v10, v8
	v_add_f16_e32 v10, v34, v101
	v_sub_f16_e32 v34, v34, v101
	;; [unrolled: 2-line block ×3, first 2 shown]
	v_mul_u32_u24_sdwa v32, v32, v98 dst_sel:DWORD dst_unused:UNUSED_PAD src0_sel:WORD_0 src1_sel:DWORD
	v_lshlrev_b32_sdwa v33, v23, v64 dst_sel:DWORD dst_unused:UNUSED_PAD src0_sel:DWORD src1_sel:BYTE_0
	v_add3_u32 v68, 0, v0, v1
	v_lshlrev_b32_sdwa v0, v23, v67 dst_sel:DWORD dst_unused:UNUSED_PAD src0_sel:DWORD src1_sel:WORD_0
	v_mul_u32_u24_e32 v1, 0x4b0, v66
	v_sub_f16_e32 v58, v58, v59
	v_add3_u32 v64, 0, v32, v33
	ds_write_b16 v53, v16 offset:800
	ds_write_b16 v53, v37 offset:1000
	ds_write_b16 v64, v13
	ds_write_b16 v64, v3 offset:200
	v_add3_u32 v66, 0, v1, v0
	ds_write_b16 v64, v17 offset:400
	ds_write_b16 v64, v2 offset:600
	ds_write_b16 v64, v14 offset:800
	ds_write_b16 v64, v9 offset:1000
	ds_write_b16 v65, v86
	ds_write_b16 v65, v92 offset:200
	ds_write_b16 v65, v36 offset:400
	ds_write_b16 v65, v5 offset:600
	ds_write_b16 v65, v4 offset:800
	ds_write_b16 v65, v35 offset:1000
	ds_write_b16 v68, v7
	ds_write_b16 v68, v11 offset:200
	;; [unrolled: 6-line block ×3, first 2 shown]
	ds_write_b16 v66, v101 offset:400
	ds_write_b16 v66, v8 offset:600
	;; [unrolled: 1-line block ×4, first 2 shown]
	s_waitcnt lgkmcnt(0)
	s_barrier
	buffer_gl0_inv
	ds_read_u16 v0, v29
	ds_read_u16 v6, v29 offset:240
	ds_read_u16 v7, v29 offset:480
	;; [unrolled: 1-line block ×29, first 2 shown]
	s_waitcnt lgkmcnt(0)
	s_barrier
	buffer_gl0_inv
	ds_write_b16 v53, v60
	v_add_f16_e32 v60, v78, v57
	ds_write_b16 v53, v62 offset:200
	ds_write_b16 v53, v70 offset:400
	;; [unrolled: 1-line block ×3, first 2 shown]
	v_add_f16_e32 v61, v42, v78
	ds_write_b16 v53, v63 offset:800
	ds_write_b16 v53, v71 offset:1000
	v_add_f16_e32 v19, v72, v19
	v_fmac_f16_e32 v42, -0.5, v60
	v_mul_f16_e32 v60, -0.5, v79
	v_add_f16_e32 v53, v61, v57
	v_mul_f16_e32 v57, 0xbaee, v84
	v_sub_f16_e32 v51, v54, v51
	v_fmamk_f16 v59, v58, 0xbaee, v42
	v_fmac_f16_e32 v42, 0x3aee, v58
	v_add_f16_e32 v58, v77, v75
	v_fmac_f16_e32 v57, 0.5, v73
	v_fmac_f16_e32 v60, 0xbaee, v56
	v_add_f16_e32 v56, v53, v19
	v_sub_f16_e32 v19, v53, v19
	v_add_f16_e32 v53, v69, v77
	v_fmac_f16_e32 v69, -0.5, v58
	v_add_f16_e32 v54, v59, v57
	v_sub_f16_e32 v57, v59, v57
	v_mul_f16_e32 v59, 0xbaee, v89
	v_mul_f16_e32 v61, -0.5, v76
	v_add_f16_e32 v58, v42, v60
	v_sub_f16_e32 v42, v42, v60
	v_add_f16_e32 v53, v53, v75
	v_fmamk_f16 v60, v51, 0xbaee, v69
	v_add_f16_e32 v40, v87, v40
	v_fmac_f16_e32 v69, 0x3aee, v51
	v_fmac_f16_e32 v59, 0.5, v90
	v_add_f16_e32 v51, v80, v74
	v_fmac_f16_e32 v61, 0xbaee, v50
	v_add_f16_e32 v50, v53, v40
	v_sub_f16_e32 v40, v53, v40
	v_add_f16_e32 v53, v82, v80
	v_fmac_f16_e32 v82, -0.5, v51
	v_sub_f16_e32 v47, v48, v47
	v_add_f16_e32 v48, v60, v59
	v_sub_f16_e32 v51, v60, v59
	v_add_f16_e32 v59, v69, v61
	v_sub_f16_e32 v60, v69, v61
	v_mul_f16_e32 v61, 0xbaee, v95
	v_add_f16_e32 v53, v53, v74
	v_fmamk_f16 v62, v47, 0xbaee, v82
	v_mul_f16_e32 v55, -0.5, v55
	v_add_f16_e32 v41, v94, v41
	v_fmac_f16_e32 v82, 0x3aee, v47
	v_fmac_f16_e32 v61, 0.5, v93
	v_add_f16_e32 v47, v81, v83
	v_fmac_f16_e32 v55, 0xbaee, v46
	v_add_f16_e32 v46, v53, v41
	v_sub_f16_e32 v41, v53, v41
	v_add_f16_e32 v53, v85, v81
	v_fmac_f16_e32 v85, -0.5, v47
	v_sub_f16_e32 v43, v45, v43
	v_add_f16_e32 v45, v62, v61
	v_sub_f16_e32 v47, v62, v61
	v_mul_f16_e32 v62, 0xbaee, v100
	v_mul_f16_e32 v52, -0.5, v52
	v_add_f16_e32 v53, v53, v83
	v_add_f16_e32 v44, v97, v44
	v_fmamk_f16 v63, v43, 0xbaee, v85
	v_fmac_f16_e32 v62, 0.5, v88
	v_fmac_f16_e32 v85, 0x3aee, v43
	v_fmac_f16_e32 v52, 0xbaee, v49
	v_add_f16_e32 v61, v82, v55
	v_sub_f16_e32 v55, v82, v55
	v_add_f16_e32 v43, v53, v44
	v_sub_f16_e32 v44, v53, v44
	;; [unrolled: 2-line block ×4, first 2 shown]
	ds_write_b16 v64, v56
	ds_write_b16 v64, v54 offset:200
	ds_write_b16 v64, v58 offset:400
	ds_write_b16 v64, v19 offset:600
	ds_write_b16 v64, v57 offset:800
	ds_write_b16 v64, v42 offset:1000
	ds_write_b16 v65, v50
	ds_write_b16 v65, v48 offset:200
	ds_write_b16 v65, v59 offset:400
	ds_write_b16 v65, v40 offset:600
	ds_write_b16 v65, v51 offset:800
	ds_write_b16 v65, v60 offset:1000
	;; [unrolled: 6-line block ×4, first 2 shown]
	s_waitcnt lgkmcnt(0)
	s_barrier
	buffer_gl0_inv
	s_and_saveexec_b32 s0, vcc_lo
	s_cbranch_execz .LBB0_15
; %bb.14:
	v_mul_u32_u24_e32 v40, 5, v22
	v_mad_u32_u24 v19, v22, 5, 0xfffffda8
	v_mul_u32_u24_e32 v41, 5, v28
	v_mul_lo_u32 v27, s2, v27
	v_lshlrev_b32_e32 v40, 2, v40
	v_lshlrev_b64 v[44:45], 2, v[19:20]
	v_lshlrev_b32_e32 v41, 2, v41
	v_add_co_u32 v19, s0, s12, v40
	v_add_co_ci_u32_e64 v40, null, s13, 0, s0
	v_add_co_u32 v46, vcc_lo, 0x800, v19
	v_add_co_u32 v19, s0, s12, v41
	v_add_co_ci_u32_e32 v47, vcc_lo, 0, v40, vcc_lo
	v_add_co_ci_u32_e64 v48, null, s13, 0, s0
	v_add_co_u32 v44, vcc_lo, s12, v44
	v_add_co_ci_u32_e32 v45, vcc_lo, s13, v45, vcc_lo
	v_add_co_u32 v52, vcc_lo, 0x800, v19
	v_add_co_ci_u32_e32 v53, vcc_lo, 0, v48, vcc_lo
	;; [unrolled: 2-line block ×3, first 2 shown]
	v_mad_u32_u24 v19, v22, 5, 0xfffffb50
	s_clause 0x5
	global_load_dwordx4 v[40:43], v[46:47], off offset:312
	global_load_dword v62, v[46:47], off offset:328
	global_load_dwordx4 v[44:47], v[52:53], off offset:312
	global_load_dwordx4 v[48:51], v[54:55], off offset:312
	global_load_dword v63, v[54:55], off offset:328
	global_load_dword v64, v[52:53], off offset:328
	v_lshlrev_b64 v[54:55], 2, v[19:20]
	v_add_co_u32 v19, vcc_lo, s12, v54
	v_add_co_ci_u32_e32 v54, vcc_lo, s13, v55, vcc_lo
	v_add_co_u32 v56, vcc_lo, 0x800, v19
	v_add_co_ci_u32_e32 v57, vcc_lo, 0, v54, vcc_lo
	v_mad_u32_u24 v19, v22, 5, 0xfffff8f8
	s_clause 0x1
	global_load_dwordx4 v[52:55], v[56:57], off offset:312
	global_load_dword v65, v[56:57], off offset:328
	v_lshlrev_b64 v[56:57], 2, v[19:20]
	v_add_co_u32 v19, vcc_lo, s12, v56
	v_add_co_ci_u32_e32 v22, vcc_lo, s13, v57, vcc_lo
	v_add_co_u32 v60, vcc_lo, 0x800, v19
	v_add_co_ci_u32_e32 v61, vcc_lo, 0, v22, vcc_lo
	s_clause 0x1
	global_load_dwordx4 v[56:59], v[60:61], off offset:312
	global_load_dword v19, v[60:61], off offset:328
	v_mul_lo_u32 v22, s3, v26
	v_mad_u64_u32 v[60:61], null, s2, v26, 0
	ds_read_u16 v26, v29 offset:2160
	ds_read_u16 v21, v21 offset:960
	;; [unrolled: 1-line block ×25, first 2 shown]
	ds_read_u16 v89, v29
	ds_read_u16 v90, v29 offset:6720
	ds_read_u16 v91, v29 offset:6480
	ds_read_u16 v92, v29 offset:6240
	ds_read_u16 v29, v29 offset:6000
	v_add3_u32 v61, v61, v27, v22
	s_waitcnt vmcnt(9)
	v_lshrrev_b32_e32 v93, 16, v42
	s_waitcnt lgkmcnt(21)
	v_mul_f16_e32 v98, v42, v72
	v_lshrrev_b32_e32 v27, 16, v41
	v_lshrrev_b32_e32 v94, 16, v43
	s_waitcnt lgkmcnt(16)
	v_mul_f16_e32 v95, v41, v77
	v_mul_f16_e32 v96, v43, v67
	s_waitcnt vmcnt(8)
	v_lshrrev_b32_e32 v97, 16, v62
	v_mul_f16_e32 v99, v62, v66
	s_waitcnt vmcnt(6)
	v_lshrrev_b32_e32 v106, 16, v49
	v_mul_f16_e32 v72, v93, v72
	v_fmac_f16_e32 v98, v38, v93
	s_waitcnt lgkmcnt(15)
	v_mul_f16_e32 v93, v49, v78
	v_lshrrev_b32_e32 v22, 16, v40
	v_mul_f16_e32 v100, v40, v26
	v_mul_f16_e32 v77, v27, v77
	v_fmac_f16_e32 v95, v36, v27
	v_lshrrev_b32_e32 v27, 16, v50
	v_mul_f16_e32 v67, v94, v67
	v_fmac_f16_e32 v96, v39, v94
	v_lshrrev_b32_e32 v94, 16, v51
	v_mul_f16_e32 v66, v97, v66
	v_fmac_f16_e32 v99, v37, v97
	v_mul_f16_e32 v97, v51, v68
	v_mul_f16_e32 v78, v106, v78
	v_fmac_f16_e32 v93, v33, v106
	v_mul_f16_e32 v106, v50, v73
	v_lshrrev_b32_e32 v105, 16, v48
	v_mul_f16_e32 v26, v22, v26
	v_fmac_f16_e32 v100, v35, v22
	s_waitcnt vmcnt(5)
	v_lshrrev_b32_e32 v22, 16, v63
	v_mul_f16_e32 v68, v94, v68
	v_fmac_f16_e32 v97, v34, v94
	s_waitcnt lgkmcnt(3)
	v_mul_f16_e32 v94, v63, v90
	v_mul_f16_e32 v73, v27, v73
	v_fmac_f16_e32 v106, v32, v27
	v_mul_f16_e32 v27, v48, v82
	v_mul_f16_e32 v90, v22, v90
	v_fmac_f16_e32 v94, v31, v22
	v_mul_f16_e32 v22, v105, v82
	v_fma_f16 v36, v36, v41, -v77
	v_fmac_f16_e32 v27, v30, v105
	v_fma_f16 v39, v39, v43, -v67
	s_waitcnt vmcnt(3)
	v_lshrrev_b32_e32 v43, 16, v52
	v_fma_f16 v26, v35, v40, -v26
	v_lshrrev_b32_e32 v35, 16, v53
	v_fma_f16 v38, v38, v42, -v72
	v_lshrrev_b32_e32 v40, 16, v54
	v_lshrrev_b32_e32 v42, 16, v55
	v_mul_f16_e32 v67, v53, v79
	v_mul_f16_e32 v72, v55, v69
	s_waitcnt vmcnt(2)
	v_lshrrev_b32_e32 v77, 16, v65
	v_fma_f16 v37, v37, v62, -v66
	v_mul_f16_e32 v62, v54, v74
	s_waitcnt lgkmcnt(2)
	v_mul_f16_e32 v66, v65, v91
	v_fma_f16 v34, v34, v51, -v68
	v_add_f16_e32 v51, v95, v96
	v_fma_f16 v33, v33, v49, -v78
	v_mul_f16_e32 v49, v52, v83
	v_fma_f16 v22, v30, v48, -v22
	v_sub_f16_e32 v30, v98, v99
	v_fma_f16 v32, v32, v50, -v73
	v_add_f16_e32 v48, v98, v99
	v_add_f16_e32 v50, v95, v21
	;; [unrolled: 1-line block ×3, first 2 shown]
	v_sub_f16_e32 v73, v95, v96
	v_add_f16_e32 v78, v93, v97
	v_fma_f16 v31, v31, v63, -v90
	v_add_f16_e32 v90, v106, v94
	v_add_f16_e32 v95, v93, v86
	;; [unrolled: 1-line block ×3, first 2 shown]
	v_mul_f16_e32 v79, v35, v79
	v_mul_f16_e32 v69, v42, v69
	v_fmac_f16_e32 v67, v18, v35
	v_fmac_f16_e32 v72, v23, v42
	v_mul_f16_e32 v35, v43, v83
	v_mul_f16_e32 v42, v40, v74
	;; [unrolled: 1-line block ×3, first 2 shown]
	v_fmac_f16_e32 v62, v17, v40
	v_fmac_f16_e32 v66, v16, v77
	s_waitcnt vmcnt(1)
	v_lshrrev_b32_e32 v77, 16, v58
	v_lshrrev_b32_e32 v83, 16, v59
	v_mul_f16_e32 v105, v59, v70
	v_fma_f16 v21, -0.5, v51, v21
	s_waitcnt vmcnt(0)
	v_lshrrev_b32_e32 v51, 16, v19
	v_sub_f16_e32 v63, v106, v94
	v_sub_f16_e32 v93, v93, v97
	v_fmac_f16_e32 v49, v14, v43
	v_lshrrev_b32_e32 v40, 16, v56
	v_lshrrev_b32_e32 v43, 16, v57
	v_mul_f16_e32 v91, v57, v80
	v_fma_f16 v48, -0.5, v48, v100
	v_mul_f16_e32 v100, v58, v75
	v_add_f16_e32 v50, v96, v50
	s_waitcnt lgkmcnt(1)
	v_mul_f16_e32 v96, v19, v92
	v_add_f16_e32 v68, v68, v99
	v_mul_f16_e32 v99, v56, v84
	v_fma_f16 v78, -0.5, v78, v86
	v_sub_f16_e32 v86, v36, v39
	v_fma_f16 v27, -0.5, v90, v27
	v_add_f16_e32 v90, v38, v37
	v_add_f16_e32 v95, v97, v95
	v_sub_f16_e32 v97, v38, v37
	v_add_f16_e32 v94, v98, v94
	v_add_f16_e32 v98, v36, v39
	;; [unrolled: 1-line block ×4, first 2 shown]
	v_fma_f16 v18, v18, v53, -v79
	v_sub_f16_e32 v53, v33, v34
	v_fma_f16 v23, v23, v55, -v69
	v_add_f16_e32 v55, v32, v31
	v_fma_f16 v35, v14, v52, -v35
	v_sub_f16_e32 v52, v32, v31
	v_fma_f16 v17, v17, v54, -v42
	v_add_f16_e32 v42, v33, v34
	v_add_f16_e32 v33, v11, v33
	;; [unrolled: 1-line block ×3, first 2 shown]
	v_fma_f16 v65, v16, v65, -v74
	v_add_f16_e32 v74, v62, v66
	v_mul_f16_e32 v70, v83, v70
	v_fmac_f16_e32 v105, v13, v83
	v_mul_f16_e32 v75, v77, v75
	v_mul_f16_e32 v83, v51, v92
	v_add_f16_e32 v54, v67, v72
	v_sub_f16_e32 v69, v62, v66
	v_add_f16_e32 v79, v67, v87
	v_add_f16_e32 v62, v49, v62
	v_mul_f16_e32 v80, v43, v80
	v_fmac_f16_e32 v91, v12, v43
	v_mul_f16_e32 v43, v40, v84
	v_fmac_f16_e32 v100, v10, v77
	v_fmac_f16_e32 v96, v9, v51
	;; [unrolled: 1-line block ×3, first 2 shown]
	v_fma_f16 v26, -0.5, v90, v26
	v_fmamk_f16 v51, v97, 0x3aee, v48
	v_sub_f16_e32 v14, v50, v68
	v_fma_f16 v77, -0.5, v98, v15
	v_add_f16_e32 v36, v36, v39
	v_add_f16_e32 v37, v38, v37
	;; [unrolled: 1-line block ×3, first 2 shown]
	v_fma_f16 v39, -0.5, v55, v22
	v_fmamk_f16 v50, v52, 0x3aee, v27
	v_fmac_f16_e32 v27, 0xbaee, v52
	v_fma_f16 v42, -0.5, v42, v11
	v_add_f16_e32 v11, v33, v34
	v_add_f16_e32 v31, v32, v31
	v_sub_f16_e32 v32, v18, v23
	v_add_f16_e32 v34, v17, v65
	v_sub_f16_e32 v52, v17, v65
	v_fma_f16 v49, -0.5, v74, v49
	v_add_f16_e32 v55, v18, v23
	v_add_f16_e32 v18, v7, v18
	v_fma_f16 v10, v10, v58, -v75
	v_fma_f16 v19, v9, v19, -v83
	v_sub_f16_e32 v67, v67, v72
	v_fmamk_f16 v38, v53, 0x3aee, v78
	v_fmac_f16_e32 v78, 0xbaee, v53
	v_fma_f16 v33, -0.5, v54, v87
	v_add_f16_e32 v53, v72, v79
	v_add_f16_e32 v54, v62, v66
	;; [unrolled: 1-line block ×3, first 2 shown]
	v_fma_f16 v12, v12, v57, -v80
	v_fma_f16 v57, v13, v59, -v70
	v_add_f16_e32 v59, v91, v105
	v_fma_f16 v43, v8, v56, -v43
	v_add_f16_e32 v58, v100, v96
	v_add_f16_e32 v66, v99, v100
	v_fmamk_f16 v70, v30, 0xbaee, v26
	v_mul_f16_e32 v72, -0.5, v51
	v_sub_f16_e32 v8, v36, v37
	v_add_f16_e32 v9, v36, v37
	v_fmamk_f16 v36, v63, 0xbaee, v39
	v_mul_f16_e32 v37, -0.5, v50
	v_fmac_f16_e32 v39, 0x3aee, v63
	v_mul_f16_e32 v74, 0x3aee, v27
	v_fma_f16 v34, -0.5, v34, v35
	v_fmamk_f16 v35, v52, 0x3aee, v49
	v_fmac_f16_e32 v49, 0xbaee, v52
	v_fma_f16 v52, -0.5, v55, v7
	v_add_f16_e32 v7, v18, v23
	v_add_f16_e32 v18, v10, v19
	v_sub_f16_e32 v56, v100, v96
	v_fmamk_f16 v75, v32, 0x3aee, v33
	v_fmac_f16_e32 v33, 0xbaee, v32
	v_sub_f16_e32 v32, v53, v54
	v_add_f16_e32 v53, v53, v54
	v_fma_f16 v54, -0.5, v59, v88
	v_sub_f16_e32 v23, v10, v19
	v_fma_f16 v55, -0.5, v58, v99
	v_add_f16_e32 v59, v66, v96
	v_add_f16_e32 v10, v43, v10
	v_fmac_f16_e32 v72, 0xbaee, v70
	v_mul_f16_e32 v66, -0.5, v70
	v_fmac_f16_e32 v37, 0xbaee, v36
	v_mul_f16_e32 v70, 0xbaee, v39
	v_fmac_f16_e32 v74, 0.5, v39
	v_fmamk_f16 v39, v69, 0xbaee, v34
	v_fmac_f16_e32 v34, 0x3aee, v69
	v_fmamk_f16 v69, v67, 0xbaee, v52
	v_fmac_f16_e32 v52, 0x3aee, v67
	v_mul_f16_e32 v67, 0x3aee, v49
	v_fma_f16 v43, -0.5, v18, v43
	v_fmamk_f16 v40, v86, 0x3aee, v21
	v_fmac_f16_e32 v21, 0xbaee, v86
	v_add_f16_e32 v62, v91, v88
	v_fmac_f16_e32 v26, 0x3aee, v30
	v_fmamk_f16 v30, v73, 0xbaee, v77
	v_mul_f16_e32 v79, -0.5, v35
	v_fmamk_f16 v86, v23, 0x3aee, v55
	v_fmac_f16_e32 v55, 0xbaee, v23
	v_fmac_f16_e32 v66, 0x3aee, v51
	v_sub_f16_e32 v23, v38, v37
	v_fmac_f16_e32 v70, 0.5, v27
	v_add_f16_e32 v27, v38, v37
	v_mul_f16_e32 v38, 0xbaee, v34
	v_fmac_f16_e32 v67, 0.5, v34
	v_fmamk_f16 v34, v56, 0xbaee, v43
	v_fmac_f16_e32 v43, 0x3aee, v56
	v_fmac_f16_e32 v48, 0xbaee, v97
	v_sub_f16_e32 v13, v11, v31
	v_add_f16_e32 v31, v11, v31
	v_add_f16_e32 v11, v17, v65
	v_sub_f16_e32 v17, v12, v57
	v_add_f16_e32 v58, v105, v62
	v_add_f16_e32 v62, v12, v57
	v_mul_f16_e32 v65, 0xbaee, v26
	v_add_f16_e32 v19, v10, v19
	v_fmac_f16_e32 v79, 0xbaee, v39
	v_mul_f16_e32 v39, -0.5, v39
	v_sub_f16_e32 v10, v30, v66
	v_add_f16_e32 v18, v30, v66
	v_mul_f16_e32 v30, 0xbaee, v43
	v_lshrrev_b32_e32 v103, 16, v46
	v_lshrrev_b32_e32 v82, 16, v64
	v_sub_f16_e32 v68, v91, v105
	v_fmac_f16_e32 v77, 0x3aee, v73
	v_mul_f16_e32 v73, 0x3aee, v48
	v_fmamk_f16 v63, v93, 0xbaee, v42
	v_fmac_f16_e32 v42, 0x3aee, v93
	v_add_f16_e32 v12, v6, v12
	v_fmamk_f16 v84, v17, 0x3aee, v54
	v_fmac_f16_e32 v54, 0xbaee, v17
	v_fma_f16 v62, -0.5, v62, v6
	v_fmac_f16_e32 v65, 0.5, v48
	v_mul_f16_e32 v48, 0x3aee, v55
	v_fmac_f16_e32 v38, 0.5, v49
	v_fmac_f16_e32 v39, 0x3aee, v35
	v_fmac_f16_e32 v30, 0.5, v55
	v_lshrrev_b32_e32 v101, 16, v44
	v_fmac_f16_e32 v73, 0.5, v26
	v_add_f16_e32 v57, v12, v57
	v_sub_f16_e32 v26, v42, v74
	v_add_f16_e32 v37, v42, v74
	v_fmamk_f16 v42, v68, 0xbaee, v62
	v_fmac_f16_e32 v62, 0x3aee, v68
	v_sub_f16_e32 v12, v21, v65
	v_add_f16_e32 v21, v21, v65
	v_fmac_f16_e32 v48, 0.5, v43
	v_sub_f16_e32 v43, v33, v38
	v_sub_f16_e32 v65, v69, v39
	v_add_f16_e32 v33, v33, v38
	v_add_f16_e32 v38, v69, v39
	v_sub_f16_e32 v66, v54, v30
	v_add_f16_e32 v54, v54, v30
	v_mul_f16_e32 v30, v103, v76
	s_waitcnt lgkmcnt(0)
	v_mul_f16_e32 v68, v82, v29
	v_mul_f16_e32 v69, v46, v76
	;; [unrolled: 1-line block ×3, first 2 shown]
	v_sub_f16_e32 v87, v58, v59
	v_add_f16_e32 v58, v58, v59
	v_sub_f16_e32 v51, v78, v70
	v_add_f16_e32 v59, v78, v70
	v_mul_f16_e32 v70, v101, v85
	v_fma_f16 v30, v5, v46, -v30
	v_fmac_f16_e32 v69, v5, v103
	v_mul_f16_e32 v5, v44, v85
	v_fmac_f16_e32 v29, v3, v82
	v_lshrrev_b32_e32 v102, 16, v45
	v_fma_f16 v46, v3, v64, -v68
	v_fma_f16 v44, v1, v44, -v70
	v_fmac_f16_e32 v5, v1, v101
	v_add_f16_e32 v1, v69, v29
	v_lshrrev_b32_e32 v104, 16, v47
	v_mul_f16_e32 v107, v45, v81
	v_mul_f16_e32 v81, v102, v81
	v_add_f16_e32 v64, v30, v46
	v_sub_f16_e32 v68, v30, v46
	v_fma_f16 v1, -0.5, v1, v5
	v_mul_f16_e32 v41, v104, v71
	v_mul_f16_e32 v3, v47, v71
	v_fmac_f16_e32 v107, v2, v102
	v_fma_f16 v64, -0.5, v64, v44
	v_sub_f16_e32 v70, v69, v29
	v_fma_f16 v2, v2, v45, -v81
	v_fmamk_f16 v45, v68, 0x3aee, v1
	v_fmac_f16_e32 v3, v4, v104
	v_fma_f16 v4, v4, v47, -v41
	v_fmamk_f16 v47, v70, 0xbaee, v64
	v_mul_f16_e32 v36, -0.5, v36
	v_mul_f16_e32 v71, -0.5, v45
	v_sub_f16_e32 v80, v7, v11
	v_add_f16_e32 v83, v7, v11
	v_sub_f16_e32 v6, v40, v72
	v_add_f16_e32 v11, v40, v72
	v_mul_f16_e32 v40, -0.5, v86
	v_fmac_f16_e32 v71, 0xbaee, v47
	v_mul_f16_e32 v47, -0.5, v47
	v_fmac_f16_e32 v36, 0x3aee, v50
	v_sub_f16_e32 v50, v57, v19
	v_fmac_f16_e32 v40, 0xbaee, v34
	v_mul_f16_e32 v34, -0.5, v34
	v_add_f16_e32 v41, v107, v3
	v_fmac_f16_e32 v64, 0x3aee, v70
	v_add_f16_e32 v57, v57, v19
	v_add_f16_e32 v19, v2, v4
	v_fmac_f16_e32 v47, 0x3aee, v45
	v_mul_hi_u32 v45, 0x1b4e81b5, v28
	v_fmac_f16_e32 v34, 0x3aee, v86
	v_sub_f16_e32 v70, v2, v4
	v_fma_f16 v41, -0.5, v41, v89
	v_fmac_f16_e32 v1, 0xbaee, v68
	v_mul_f16_e32 v68, 0xbaee, v64
	v_add_f16_e32 v5, v5, v69
	v_fma_f16 v19, -0.5, v19, v0
	v_sub_f16_e32 v69, v107, v3
	v_add_f16_e32 v0, v0, v2
	v_sub_f16_e32 v35, v52, v67
	v_add_f16_e32 v52, v52, v67
	;; [unrolled: 2-line block ×3, first 2 shown]
	v_fmamk_f16 v42, v70, 0x3aee, v41
	v_fmac_f16_e32 v68, 0.5, v1
	v_add_f16_e32 v72, v107, v89
	v_add_f16_e32 v5, v5, v29
	v_mul_f16_e32 v29, 0x3aee, v1
	v_fmamk_f16 v1, v69, 0xbaee, v19
	v_fmac_f16_e32 v19, 0x3aee, v69
	v_add_f16_e32 v2, v44, v30
	v_add_f16_e32 v69, v0, v4
	v_lshrrev_b32_e32 v0, 6, v45
	v_sub_f16_e32 v55, v62, v48
	v_add_f16_e32 v48, v62, v48
	v_sub_f16_e32 v62, v42, v71
	v_add_f16_e32 v3, v3, v72
	;; [unrolled: 2-line block ×3, first 2 shown]
	v_add_f16_e32 v4, v42, v71
	v_mul_u32_u24_e32 v2, 0x258, v0
	v_add_f16_e32 v42, v1, v47
	v_lshlrev_b64 v[0:1], 2, v[60:61]
	v_fmac_f16_e32 v29, 0.5, v64
	v_sub_f16_e32 v64, v3, v5
	v_add_f16_e32 v5, v3, v5
	v_sub_nc_u32_e32 v46, v28, v2
	v_lshlrev_b64 v[2:3], 2, v[24:25]
	v_add_co_u32 v0, vcc_lo, s10, v0
	v_add_co_ci_u32_e32 v1, vcc_lo, s11, v1, vcc_lo
	v_lshlrev_b32_e32 v24, 2, v46
	v_add_co_u32 v46, vcc_lo, v0, v2
	v_add_nc_u32_e32 v25, 0x78, v28
	v_add_co_ci_u32_e32 v47, vcc_lo, v1, v3, vcc_lo
	v_add_co_u32 v0, vcc_lo, v46, v24
	v_mul_hi_u32 v24, 0x1b4e81b5, v25
	v_fmac_f16_e32 v41, 0xbaee, v70
	v_add_co_ci_u32_e32 v1, vcc_lo, 0, v47, vcc_lo
	v_sub_f16_e32 v44, v19, v29
	v_add_f16_e32 v19, v19, v29
	v_sub_f16_e32 v70, v41, v68
	v_add_f16_e32 v41, v41, v68
	v_add_f16_e32 v29, v69, v45
	v_lshrrev_b32_e32 v24, 6, v24
	v_add_co_u32 v2, vcc_lo, 0x800, v0
	v_add_co_ci_u32_e32 v3, vcc_lo, 0, v1, vcc_lo
	v_pack_b32_f16 v29, v29, v5
	v_pack_b32_f16 v19, v19, v41
	;; [unrolled: 1-line block ×3, first 2 shown]
	v_add_co_u32 v4, vcc_lo, 0x1000, v0
	v_sub_f16_e32 v42, v69, v45
	v_mul_u32_u24_e32 v45, 0x258, v24
	v_add_co_ci_u32_e32 v5, vcc_lo, 0, v1, vcc_lo
	global_store_dword v[0:1], v29, off
	global_store_dword v[2:3], v19, off offset:352
	global_store_dword v[4:5], v41, off offset:704
	v_sub_nc_u32_e32 v4, v25, v45
	v_add_co_u32 v2, vcc_lo, 0x1800, v0
	v_add_co_ci_u32_e32 v3, vcc_lo, 0, v1, vcc_lo
	v_mad_u32_u24 v19, 0xe10, v24, v4
	v_add_co_u32 v4, vcc_lo, 0x2000, v0
	v_add_co_ci_u32_e32 v5, vcc_lo, 0, v1, vcc_lo
	v_lshlrev_b64 v[24:25], 2, v[19:20]
	v_add_co_u32 v0, vcc_lo, 0x2800, v0
	v_pack_b32_f16 v41, v42, v64
	v_pack_b32_f16 v42, v44, v70
	;; [unrolled: 1-line block ×3, first 2 shown]
	v_add_co_ci_u32_e32 v1, vcc_lo, 0, v1, vcc_lo
	v_add_nc_u32_e32 v29, 0x258, v19
	v_mov_b32_e32 v30, v20
	v_add_co_u32 v24, vcc_lo, v46, v24
	v_add_co_ci_u32_e32 v25, vcc_lo, v47, v25, vcc_lo
	v_pack_b32_f16 v45, v57, v58
	global_store_dword v[2:3], v41, off offset:1056
	global_store_dword v[4:5], v42, off offset:1408
	;; [unrolled: 1-line block ×3, first 2 shown]
	global_store_dword v[24:25], v45, off
	v_lshlrev_b64 v[0:1], 2, v[29:30]
	v_add_nc_u32_e32 v29, 0xf0, v28
	v_add_nc_u32_e32 v2, 0x4b0, v19
	v_mov_b32_e32 v3, v20
	v_add_nc_u32_e32 v4, 0x708, v19
	v_mov_b32_e32 v5, v20
	v_mul_hi_u32 v30, 0x1b4e81b5, v29
	v_add_nc_u32_e32 v24, 0x960, v19
	v_lshlrev_b64 v[2:3], 2, v[2:3]
	v_mov_b32_e32 v25, v20
	v_add_co_u32 v0, vcc_lo, v46, v0
	v_lshlrev_b64 v[4:5], 2, v[4:5]
	v_add_co_ci_u32_e32 v1, vcc_lo, v47, v1, vcc_lo
	v_lshrrev_b32_e32 v42, 6, v30
	v_add_co_u32 v2, vcc_lo, v46, v2
	v_lshlrev_b64 v[24:25], 2, v[24:25]
	v_add_nc_u32_e32 v19, 0xbb8, v19
	v_mul_u32_u24_e32 v30, 0x258, v42
	v_sub_f16_e32 v39, v84, v40
	v_add_f16_e32 v40, v84, v40
	v_add_co_ci_u32_e32 v3, vcc_lo, v47, v3, vcc_lo
	v_sub_nc_u32_e32 v44, v29, v30
	v_add_co_u32 v4, vcc_lo, v46, v4
	v_pack_b32_f16 v41, v48, v54
	v_add_co_ci_u32_e32 v5, vcc_lo, v47, v5, vcc_lo
	v_lshlrev_b64 v[29:30], 2, v[19:20]
	v_mad_u32_u24 v19, 0xe10, v42, v44
	v_pack_b32_f16 v34, v34, v40
	v_add_co_u32 v24, vcc_lo, v46, v24
	v_pack_b32_f16 v40, v50, v87
	v_add_co_ci_u32_e32 v25, vcc_lo, v47, v25, vcc_lo
	v_pack_b32_f16 v45, v55, v66
	global_store_dword v[0:1], v41, off
	global_store_dword v[2:3], v34, off
	;; [unrolled: 1-line block ×4, first 2 shown]
	v_lshlrev_b64 v[0:1], 2, v[19:20]
	v_add_nc_u32_e32 v2, 0x258, v19
	v_mov_b32_e32 v3, v20
	v_add_co_u32 v4, vcc_lo, v46, v29
	v_add_co_ci_u32_e32 v5, vcc_lo, v47, v30, vcc_lo
	v_lshlrev_b64 v[2:3], 2, v[2:3]
	v_add_co_u32 v0, vcc_lo, v46, v0
	v_pack_b32_f16 v29, v67, v39
	v_add_nc_u32_e32 v34, 0x168, v28
	v_add_co_ci_u32_e32 v1, vcc_lo, v47, v1, vcc_lo
	v_pack_b32_f16 v30, v83, v53
	v_add_co_u32 v2, vcc_lo, v46, v2
	global_store_dword v[4:5], v29, off
	global_store_dword v[0:1], v30, off
	v_mul_hi_u32 v4, 0x1b4e81b5, v34
	v_add_co_ci_u32_e32 v3, vcc_lo, v47, v3, vcc_lo
	v_pack_b32_f16 v33, v52, v33
	v_add_nc_u32_e32 v24, 0x4b0, v19
	v_mov_b32_e32 v25, v20
	v_add_f16_e32 v49, v75, v79
	v_mov_b32_e32 v5, v20
	global_store_dword v[2:3], v33, off
	v_add_nc_u32_e32 v2, 0x708, v19
	v_mov_b32_e32 v3, v20
	v_lshlrev_b64 v[0:1], 2, v[24:25]
	v_lshrrev_b32_e32 v24, 6, v4
	v_add_nc_u32_e32 v4, 0x960, v19
	v_pack_b32_f16 v25, v38, v49
	v_lshlrev_b64 v[2:3], 2, v[2:3]
	v_add_nc_u32_e32 v19, 0xbb8, v19
	v_mul_u32_u24_e32 v29, 0x258, v24
	v_add_co_u32 v0, vcc_lo, v46, v0
	v_add_co_ci_u32_e32 v1, vcc_lo, v47, v1, vcc_lo
	v_add_co_u32 v2, vcc_lo, v46, v2
	v_sub_nc_u32_e32 v29, v34, v29
	v_add_co_ci_u32_e32 v3, vcc_lo, v47, v3, vcc_lo
	v_pack_b32_f16 v30, v80, v32
	v_lshlrev_b64 v[4:5], 2, v[4:5]
	global_store_dword v[0:1], v25, off
	global_store_dword v[2:3], v30, off
	v_lshlrev_b64 v[0:1], 2, v[19:20]
	v_mad_u32_u24 v19, 0xe10, v24, v29
	v_add_co_u32 v2, vcc_lo, v46, v4
	v_add_co_ci_u32_e32 v3, vcc_lo, v47, v5, vcc_lo
	v_lshlrev_b64 v[4:5], 2, v[19:20]
	v_sub_f16_e32 v56, v63, v36
	v_add_f16_e32 v36, v63, v36
	v_sub_f16_e32 v63, v75, v79
	v_add_f16_e32 v22, v95, v94
	v_add_co_u32 v0, vcc_lo, v46, v0
	v_add_co_ci_u32_e32 v1, vcc_lo, v47, v1, vcc_lo
	v_add_co_u32 v4, vcc_lo, v46, v4
	v_pack_b32_f16 v32, v35, v43
	v_pack_b32_f16 v33, v65, v63
	v_add_co_ci_u32_e32 v5, vcc_lo, v47, v5, vcc_lo
	v_pack_b32_f16 v22, v31, v22
	v_add_nc_u32_e32 v24, 0x258, v19
	v_mov_b32_e32 v25, v20
	global_store_dword v[2:3], v32, off
	global_store_dword v[0:1], v33, off
	;; [unrolled: 1-line block ×3, first 2 shown]
	v_add_nc_u32_e32 v22, 0x1e0, v28
	v_add_nc_u32_e32 v29, 0x4b0, v19
	v_lshlrev_b64 v[2:3], 2, v[24:25]
	v_mov_b32_e32 v30, v20
	v_pack_b32_f16 v28, v37, v59
	v_mul_hi_u32 v5, 0x1b4e81b5, v22
	v_add_nc_u32_e32 v4, 0x708, v19
	v_pack_b32_f16 v27, v36, v27
	v_add_co_u32 v2, vcc_lo, v46, v2
	v_lshlrev_b64 v[0:1], 2, v[29:30]
	v_add_co_ci_u32_e32 v3, vcc_lo, v47, v3, vcc_lo
	v_lshrrev_b32_e32 v29, 6, v5
	v_mov_b32_e32 v5, v20
	v_add_nc_u32_e32 v24, 0x960, v19
	global_store_dword v[2:3], v28, off
	v_add_co_u32 v0, vcc_lo, v46, v0
	v_mul_u32_u24_e32 v28, 0x258, v29
	v_add_co_ci_u32_e32 v1, vcc_lo, v47, v1, vcc_lo
	v_add_nc_u32_e32 v19, 0xbb8, v19
	v_lshlrev_b64 v[2:3], 2, v[4:5]
	v_sub_nc_u32_e32 v22, v22, v28
	global_store_dword v[0:1], v27, off
	v_lshlrev_b64 v[0:1], 2, v[24:25]
	v_lshlrev_b64 v[4:5], 2, v[19:20]
	v_sub_f16_e32 v16, v95, v94
	v_mad_u32_u24 v19, 0xe10, v29, v22
	v_add_co_u32 v2, vcc_lo, v46, v2
	v_add_co_ci_u32_e32 v3, vcc_lo, v47, v3, vcc_lo
	v_add_co_u32 v0, vcc_lo, v46, v0
	v_lshlrev_b64 v[24:25], 2, v[19:20]
	v_add_co_ci_u32_e32 v1, vcc_lo, v47, v1, vcc_lo
	v_add_co_u32 v4, vcc_lo, v46, v4
	v_pack_b32_f16 v13, v13, v16
	v_add_co_ci_u32_e32 v5, vcc_lo, v47, v5, vcc_lo
	v_pack_b32_f16 v26, v26, v51
	v_add_co_u32 v22, vcc_lo, v46, v24
	v_pack_b32_f16 v27, v56, v23
	v_pack_b32_f16 v9, v9, v15
	v_add_nc_u32_e32 v15, 0x258, v19
	v_mov_b32_e32 v16, v20
	v_add_co_ci_u32_e32 v23, vcc_lo, v47, v25, vcc_lo
	global_store_dword v[2:3], v13, off
	global_store_dword v[0:1], v26, off
	;; [unrolled: 1-line block ×4, first 2 shown]
	v_add_nc_u32_e32 v2, 0x4b0, v19
	v_mov_b32_e32 v3, v20
	v_lshlrev_b64 v[0:1], 2, v[15:16]
	v_add_nc_u32_e32 v4, 0x708, v19
	v_mov_b32_e32 v5, v20
	v_add_nc_u32_e32 v15, 0x960, v19
	v_lshlrev_b64 v[2:3], 2, v[2:3]
	v_add_nc_u32_e32 v19, 0xbb8, v19
	v_add_co_u32 v0, vcc_lo, v46, v0
	v_lshlrev_b64 v[4:5], 2, v[4:5]
	v_add_co_ci_u32_e32 v1, vcc_lo, v47, v1, vcc_lo
	v_add_co_u32 v2, vcc_lo, v46, v2
	v_lshlrev_b64 v[15:16], 2, v[15:16]
	v_add_f16_e32 v17, v77, v73
	v_add_co_ci_u32_e32 v3, vcc_lo, v47, v3, vcc_lo
	v_pack_b32_f16 v11, v18, v11
	v_add_co_u32 v4, vcc_lo, v46, v4
	v_pack_b32_f16 v18, v8, v14
	v_lshlrev_b64 v[8:9], 2, v[19:20]
	v_sub_f16_e32 v7, v77, v73
	v_add_co_ci_u32_e32 v5, vcc_lo, v47, v5, vcc_lo
	v_add_co_u32 v13, vcc_lo, v46, v15
	v_pack_b32_f16 v17, v17, v21
	v_add_co_ci_u32_e32 v14, vcc_lo, v47, v16, vcc_lo
	v_pack_b32_f16 v12, v7, v12
	v_add_co_u32 v7, vcc_lo, v46, v8
	v_add_co_ci_u32_e32 v8, vcc_lo, v47, v9, vcc_lo
	v_pack_b32_f16 v6, v10, v6
	global_store_dword v[0:1], v17, off
	global_store_dword v[2:3], v11, off
	;; [unrolled: 1-line block ×5, first 2 shown]
.LBB0_15:
	s_endpgm
	.section	.rodata,"a",@progbits
	.p2align	6, 0x0
	.amdhsa_kernel fft_rtc_fwd_len3600_factors_10_10_6_6_wgs_120_tpt_120_halfLds_half_op_CI_CI_unitstride_sbrr_dirReg
		.amdhsa_group_segment_fixed_size 0
		.amdhsa_private_segment_fixed_size 0
		.amdhsa_kernarg_size 104
		.amdhsa_user_sgpr_count 6
		.amdhsa_user_sgpr_private_segment_buffer 1
		.amdhsa_user_sgpr_dispatch_ptr 0
		.amdhsa_user_sgpr_queue_ptr 0
		.amdhsa_user_sgpr_kernarg_segment_ptr 1
		.amdhsa_user_sgpr_dispatch_id 0
		.amdhsa_user_sgpr_flat_scratch_init 0
		.amdhsa_user_sgpr_private_segment_size 0
		.amdhsa_wavefront_size32 1
		.amdhsa_uses_dynamic_stack 0
		.amdhsa_system_sgpr_private_segment_wavefront_offset 0
		.amdhsa_system_sgpr_workgroup_id_x 1
		.amdhsa_system_sgpr_workgroup_id_y 0
		.amdhsa_system_sgpr_workgroup_id_z 0
		.amdhsa_system_sgpr_workgroup_info 0
		.amdhsa_system_vgpr_workitem_id 0
		.amdhsa_next_free_vgpr 108
		.amdhsa_next_free_sgpr 27
		.amdhsa_reserve_vcc 1
		.amdhsa_reserve_flat_scratch 0
		.amdhsa_float_round_mode_32 0
		.amdhsa_float_round_mode_16_64 0
		.amdhsa_float_denorm_mode_32 3
		.amdhsa_float_denorm_mode_16_64 3
		.amdhsa_dx10_clamp 1
		.amdhsa_ieee_mode 1
		.amdhsa_fp16_overflow 0
		.amdhsa_workgroup_processor_mode 1
		.amdhsa_memory_ordered 1
		.amdhsa_forward_progress 0
		.amdhsa_shared_vgpr_count 0
		.amdhsa_exception_fp_ieee_invalid_op 0
		.amdhsa_exception_fp_denorm_src 0
		.amdhsa_exception_fp_ieee_div_zero 0
		.amdhsa_exception_fp_ieee_overflow 0
		.amdhsa_exception_fp_ieee_underflow 0
		.amdhsa_exception_fp_ieee_inexact 0
		.amdhsa_exception_int_div_zero 0
	.end_amdhsa_kernel
	.text
.Lfunc_end0:
	.size	fft_rtc_fwd_len3600_factors_10_10_6_6_wgs_120_tpt_120_halfLds_half_op_CI_CI_unitstride_sbrr_dirReg, .Lfunc_end0-fft_rtc_fwd_len3600_factors_10_10_6_6_wgs_120_tpt_120_halfLds_half_op_CI_CI_unitstride_sbrr_dirReg
                                        ; -- End function
	.section	.AMDGPU.csdata,"",@progbits
; Kernel info:
; codeLenInByte = 17872
; NumSgprs: 29
; NumVgprs: 108
; ScratchSize: 0
; MemoryBound: 0
; FloatMode: 240
; IeeeMode: 1
; LDSByteSize: 0 bytes/workgroup (compile time only)
; SGPRBlocks: 3
; VGPRBlocks: 13
; NumSGPRsForWavesPerEU: 29
; NumVGPRsForWavesPerEU: 108
; Occupancy: 9
; WaveLimiterHint : 1
; COMPUTE_PGM_RSRC2:SCRATCH_EN: 0
; COMPUTE_PGM_RSRC2:USER_SGPR: 6
; COMPUTE_PGM_RSRC2:TRAP_HANDLER: 0
; COMPUTE_PGM_RSRC2:TGID_X_EN: 1
; COMPUTE_PGM_RSRC2:TGID_Y_EN: 0
; COMPUTE_PGM_RSRC2:TGID_Z_EN: 0
; COMPUTE_PGM_RSRC2:TIDIG_COMP_CNT: 0
	.text
	.p2alignl 6, 3214868480
	.fill 48, 4, 3214868480
	.type	__hip_cuid_a5c8fca6a12897a1,@object ; @__hip_cuid_a5c8fca6a12897a1
	.section	.bss,"aw",@nobits
	.globl	__hip_cuid_a5c8fca6a12897a1
__hip_cuid_a5c8fca6a12897a1:
	.byte	0                               ; 0x0
	.size	__hip_cuid_a5c8fca6a12897a1, 1

	.ident	"AMD clang version 19.0.0git (https://github.com/RadeonOpenCompute/llvm-project roc-6.4.0 25133 c7fe45cf4b819c5991fe208aaa96edf142730f1d)"
	.section	".note.GNU-stack","",@progbits
	.addrsig
	.addrsig_sym __hip_cuid_a5c8fca6a12897a1
	.amdgpu_metadata
---
amdhsa.kernels:
  - .args:
      - .actual_access:  read_only
        .address_space:  global
        .offset:         0
        .size:           8
        .value_kind:     global_buffer
      - .offset:         8
        .size:           8
        .value_kind:     by_value
      - .actual_access:  read_only
        .address_space:  global
        .offset:         16
        .size:           8
        .value_kind:     global_buffer
      - .actual_access:  read_only
        .address_space:  global
        .offset:         24
        .size:           8
        .value_kind:     global_buffer
      - .actual_access:  read_only
        .address_space:  global
        .offset:         32
        .size:           8
        .value_kind:     global_buffer
      - .offset:         40
        .size:           8
        .value_kind:     by_value
      - .actual_access:  read_only
        .address_space:  global
        .offset:         48
        .size:           8
        .value_kind:     global_buffer
      - .actual_access:  read_only
        .address_space:  global
        .offset:         56
        .size:           8
        .value_kind:     global_buffer
      - .offset:         64
        .size:           4
        .value_kind:     by_value
      - .actual_access:  read_only
        .address_space:  global
        .offset:         72
        .size:           8
        .value_kind:     global_buffer
      - .actual_access:  read_only
        .address_space:  global
        .offset:         80
        .size:           8
        .value_kind:     global_buffer
      - .actual_access:  read_only
        .address_space:  global
        .offset:         88
        .size:           8
        .value_kind:     global_buffer
      - .actual_access:  write_only
        .address_space:  global
        .offset:         96
        .size:           8
        .value_kind:     global_buffer
    .group_segment_fixed_size: 0
    .kernarg_segment_align: 8
    .kernarg_segment_size: 104
    .language:       OpenCL C
    .language_version:
      - 2
      - 0
    .max_flat_workgroup_size: 120
    .name:           fft_rtc_fwd_len3600_factors_10_10_6_6_wgs_120_tpt_120_halfLds_half_op_CI_CI_unitstride_sbrr_dirReg
    .private_segment_fixed_size: 0
    .sgpr_count:     29
    .sgpr_spill_count: 0
    .symbol:         fft_rtc_fwd_len3600_factors_10_10_6_6_wgs_120_tpt_120_halfLds_half_op_CI_CI_unitstride_sbrr_dirReg.kd
    .uniform_work_group_size: 1
    .uses_dynamic_stack: false
    .vgpr_count:     108
    .vgpr_spill_count: 0
    .wavefront_size: 32
    .workgroup_processor_mode: 1
amdhsa.target:   amdgcn-amd-amdhsa--gfx1030
amdhsa.version:
  - 1
  - 2
...

	.end_amdgpu_metadata
